;; amdgpu-corpus repo=ROCm/aiter kind=harvested arch=n/a opt=n/a

/root/src/amdgpu-assembly/repos/ROCm__aiter/hsa/gfx942/fmoe/gelu/fmoe_int8_g1u0_subGU_448_gelu.co:	file format elf64-amdgpu

Disassembly of section .text:

0000000000002b00 <fmoe_int8_g1u0_subGU_448_gelu>:
	s_and_b32 s1, s1, 0xffff                                   // 000000002B00: 8601FF01 0000FFFF
	s_load_dwordx2 s[8:9], s[0:1], 0x0                         // 000000002B08: C0060200 00000000
	s_load_dwordx2 s[20:21], s[0:1], 0x10                      // 000000002B10: C0060500 00000010
	s_load_dwordx2 s[24:25], s[0:1], 0x20                      // 000000002B18: C0060600 00000020
	s_load_dwordx2 s[50:51], s[0:1], 0x30                      // 000000002B20: C0060C80 00000030
	s_load_dwordx2 s[12:13], s[0:1], 0x40                      // 000000002B28: C0060300 00000040
	s_load_dwordx2 s[28:29], s[0:1], 0x50                      // 000000002B30: C0060700 00000050
	s_load_dwordx2 s[32:33], s[0:1], 0x60                      // 000000002B38: C0060800 00000060
	s_load_dwordx2 s[16:17], s[0:1], 0x70                      // 000000002B40: C0060400 00000070
	s_load_dwordx2 s[36:37], s[0:1], 0x80                      // 000000002B48: C0060900 00000080
	s_load_dwordx2 s[44:45], s[0:1], 0x90                      // 000000002B50: C0060B00 00000090
	s_load_dwordx2 s[40:41], s[0:1], 0xa0                      // 000000002B58: C0060A00 000000A0
	s_load_dwordx2 s[46:47], s[0:1], 0xb0                      // 000000002B60: C0060B80 000000B0
	s_load_dword s64, s[0:1], 0xc0                             // 000000002B68: C0021000 000000C0
	s_load_dword s65, s[0:1], 0xd0                             // 000000002B70: C0021040 000000D0
	s_load_dword s66, s[0:1], 0xe0                             // 000000002B78: C0021080 000000E0
	s_load_dword s67, s[0:1], 0xf0                             // 000000002B80: C00210C0 000000F0
	s_load_dword s68, s[0:1], 0x100                            // 000000002B88: C0021100 00000100
	s_load_dword s69, s[0:1], 0x110                            // 000000002B90: C0021140 00000110
	s_load_dword s70, s[0:1], 0x120                            // 000000002B98: C0021180 00000120
	s_load_dword s71, s[0:1], 0x130                            // 000000002BA0: C00211C0 00000130
	s_load_dword s72, s[0:1], 0x140                            // 000000002BA8: C0021200 00000140
	s_load_dword s73, s[0:1], 0x150                            // 000000002BB0: C0021240 00000150
	s_load_dword s74, s[0:1], 0x160                            // 000000002BB8: C0021280 00000160
	s_load_dword s75, s[0:1], 0x170                            // 000000002BC0: C00212C0 00000170
	s_load_dword s76, s[0:1], 0x180                            // 000000002BC8: C0021300 00000180
	s_load_dword s63, s[0:1], 0x190                            // 000000002BD0: C0020FC0 00000190
	v_lshrrev_b32_e32 v1, 10, v0                               // 000000002BD8: 2002008A
	v_lshrrev_b32_e32 v2, 10, v1                               // 000000002BDC: 2004028A
	v_and_b32_e32 v2, 0x3ff, v2                                // 000000002BE0: 260404FF 000003FF
	v_and_b32_e32 v1, 0x3ff, v1                                // 000000002BE8: 260202FF 000003FF
	v_and_b32_e32 v0, 0x3ff, v0                                // 000000002BF0: 260000FF 000003FF
	v_lshrrev_b32_e32 v3, 6, v0                                // 000000002BF8: 20060086
	v_and_b32_e32 v0, 63, v0                                   // 000000002BFC: 260000BF
	s_mov_b32 s2, s2                                           // 000000002C00: BE820002
	s_mov_b32 s3, s3                                           // 000000002C04: BE830003
	s_mov_b32 s4, s4                                           // 000000002C08: BE840004
	v_readfirstlane_b32 s7, v3                                 // 000000002C0C: 7E0E0503
	s_waitcnt lgkmcnt(0)                                       // 000000002C10: BF8CC07F
	s_and_b32 s51, s51, 0xffff                                 // 000000002C14: 8633FF33 0000FFFF
	s_load_dword s50, s[50:51], 0x0                            // 000000002C1C: C0020C99 00000000
	s_and_b32 s45, s45, 0xffff                                 // 000000002C24: 862DFF2D 0000FFFF
	s_and_b32 s47, s47, 0xffff                                 // 000000002C2C: 862FFF2F 0000FFFF
	s_and_b32 s9, s9, 0xffff                                   // 000000002C34: 8609FF09 0000FFFF
	s_mul_i32 s60, s66, s68                                    // 000000002C3C: 923C4442
	s_mul_i32 s60, s63, s60                                    // 000000002C40: 923C3C3F
	s_mul_i32 s61, s66, 4                                      // 000000002C44: 923D8442
	s_mul_i32 s61, s63, s61                                    // 000000002C48: 923D3D3F
	s_mov_b32 s22, s60                                         // 000000002C4C: BE96003C
	s_mov_b32 s26, 0x80000000                                  // 000000002C50: BE9A00FF 80000000
	s_mov_b32 s14, 0x80000000                                  // 000000002C58: BE8E00FF 80000000
	s_mov_b32 s42, 0x80000000                                  // 000000002C60: BEAA00FF 80000000
	s_mov_b32 s30, s61                                         // 000000002C68: BE9E003D
	s_mov_b32 s34, 0x700                                       // 000000002C6C: BEA200FF 00000700
	s_mov_b32 s38, 0x700                                       // 000000002C74: BEA600FF 00000700
	s_mov_b32 s18, 0x80000000                                  // 000000002C7C: BE9200FF 80000000
	s_mov_b32 s23, 0x20000                                     // 000000002C84: BE9700FF 00020000
	s_mov_b32 s27, 0x20000                                     // 000000002C8C: BE9B00FF 00020000
	s_mov_b32 s15, 0x20000                                     // 000000002C94: BE8F00FF 00020000
	s_mov_b32 s43, 0x20000                                     // 000000002C9C: BEAB00FF 00020000
	s_mov_b32 s31, 0x20000                                     // 000000002CA4: BE9F00FF 00020000
	s_mov_b32 s35, 0x20000                                     // 000000002CAC: BEA300FF 00020000
	s_mov_b32 s39, 0x20000                                     // 000000002CB4: BEA700FF 00020000
	s_mov_b32 s19, 0x20000                                     // 000000002CBC: BE9300FF 00020000
	s_and_b32 s21, s21, 0xffff                                 // 000000002CC4: 8615FF15 0000FFFF
	s_and_b32 s25, s25, 0xffff                                 // 000000002CCC: 8619FF19 0000FFFF
	s_and_b32 s13, s13, 0xffff                                 // 000000002CD4: 860DFF0D 0000FFFF
	s_and_b32 s41, s41, 0xffff                                 // 000000002CDC: 8629FF29 0000FFFF
	s_and_b32 s29, s29, 0xffff                                 // 000000002CE4: 861DFF1D 0000FFFF
	s_and_b32 s33, s33, 0xffff                                 // 000000002CEC: 8621FF21 0000FFFF
	s_and_b32 s37, s37, 0xffff                                 // 000000002CF4: 8625FF25 0000FFFF
	s_and_b32 s17, s17, 0xffff                                 // 000000002CFC: 8611FF11 0000FFFF
	s_or_b32 s21, s21, 0x40000                                 // 000000002D04: 8715FF15 00040000
	s_or_b32 s25, s25, 0x40000                                 // 000000002D0C: 8719FF19 00040000
	s_or_b32 s13, s13, 0x40000                                 // 000000002D14: 870DFF0D 00040000
	s_or_b32 s41, s41, 0x40000                                 // 000000002D1C: 8729FF29 00040000
	s_or_b32 s29, s29, 0x40000                                 // 000000002D24: 871DFF1D 00040000
	s_or_b32 s33, s33, 0x40000                                 // 000000002D2C: 8721FF21 00040000
	s_or_b32 s37, s37, 0x40000                                 // 000000002D34: 8725FF25 00040000
	s_or_b32 s17, s17, 0x40000                                 // 000000002D3C: 8711FF11 00040000
	v_accvgpr_write_b32 a223, 0                                // 000000002D44: D3D940DF 18000080
	v_mov_b32_e32 v247, 0                                      // 000000002D4C: 7FEE0280
	s_waitcnt lgkmcnt(0)                                       // 000000002D50: BF8CC07F
	s_mul_i32 s60, s3, 32                                      // 000000002D54: 923CA003
	s_cmp_lt_i32 s60, s50                                      // 000000002D58: BF04323C
	s_cbranch_scc0 label_2086                                  // 000000002D5C: BF841FEE
	s_mov_b32 s80, 0                                           // 000000002D60: BED00080
	s_mov_b32 s81, s64                                         // 000000002D64: BED10040
	s_mul_i32 s60, s3, 4                                       // 000000002D68: 923C8403
	s_add_u32 s46, s60, s46                                    // 000000002D6C: 802E2E3C
	s_addc_u32 s47, 0, s47                                     // 000000002D70: 822F2F80
	s_load_dword s5, s[46:47], 0x0                             // 000000002D74: C0020157 00000000
	s_mul_i32 s60, s3, 32                                      // 000000002D7C: 923CA003
	s_mul_i32 s60, 4, s60                                      // 000000002D80: 923C3C84
	v_and_b32_e32 v50, 15, v0                                  // 000000002D84: 2664008F
	v_lshlrev_b32_e32 v50, 2, v50                              // 000000002D88: 24646482
	v_add_u32_e32 v50, s60, v50                                // 000000002D8C: 6864643C
	v_mov_b32_e32 v51, 0                                       // 000000002D90: 7E660280
	global_load_dword v6, v50, s[44:45]                        // 000000002D94: DC508000 062C0032
	v_add_u32_e32 v50, 64, v50                                 // 000000002D9C: 686464C0
	global_load_dword v7, v50, s[44:45]                        // 000000002DA0: DC508000 072C0032
	s_mul_i32 s60, s3, 32                                      // 000000002DA8: 923CA003
	s_add_u32 s60, s7, s60                                     // 000000002DAC: 803C3C07
	s_mul_i32 s60, 4, s60                                      // 000000002DB0: 923C3C84
	s_add_u32 s44, s60, s44                                    // 000000002DB4: 802C2C3C
	s_addc_u32 s45, 0, s45                                     // 000000002DB8: 822D2D80
	s_load_dword s82, s[44:45], 0x0                            // 000000002DBC: C0021496 00000000
	s_load_dword s83, s[44:45], 0x10                           // 000000002DC4: C00214D6 00000010
	s_load_dword s84, s[44:45], 0x20                           // 000000002DCC: C0021516 00000020
	s_load_dword s85, s[44:45], 0x30                           // 000000002DD4: C0021556 00000030
	s_load_dword s86, s[44:45], 0x40                           // 000000002DDC: C0021596 00000040
	s_load_dword s87, s[44:45], 0x50                           // 000000002DE4: C00215D6 00000050
	s_load_dword s88, s[44:45], 0x60                           // 000000002DEC: C0021616 00000060
	s_load_dword s89, s[44:45], 0x70                           // 000000002DF4: C0021656 00000070
	s_waitcnt lgkmcnt(0)                                       // 000000002DFC: BF8CC07F
	v_lshlrev_b32_e32 v50, 2, v0                               // 000000002E00: 24640082
	s_lshr_b32 s61, s82, 24                                    // 000000002E04: 8F3D9852
	s_mul_i32 s61, s61, s68                                    // 000000002E08: 923D443D
	s_mul_i32 s61, s61, s66                                    // 000000002E0C: 923D423D
	s_and_b32 s82, s82, 0xffffff                               // 000000002E10: 8652FF52 00FFFFFF
	s_mul_i32 s60, s82, s68                                    // 000000002E18: 923C4452
	s_add_u32 s60, s61, s60                                    // 000000002E1C: 803C3C3D
	v_add_u32_e64 v26, v50, s60                                // 000000002E20: D134001A 00007932
	s_lshr_b32 s61, s83, 24                                    // 000000002E28: 8F3D9853
	s_mul_i32 s61, s61, s68                                    // 000000002E2C: 923D443D
	s_mul_i32 s61, s61, s66                                    // 000000002E30: 923D423D
	s_and_b32 s83, s83, 0xffffff                               // 000000002E34: 8653FF53 00FFFFFF
	s_mul_i32 s60, s83, s68                                    // 000000002E3C: 923C4453
	s_add_u32 s60, s61, s60                                    // 000000002E40: 803C3C3D
	v_add_u32_e64 v27, v50, s60                                // 000000002E44: D134001B 00007932
	s_lshr_b32 s61, s84, 24                                    // 000000002E4C: 8F3D9854
	s_mul_i32 s61, s61, s68                                    // 000000002E50: 923D443D
	s_mul_i32 s61, s61, s66                                    // 000000002E54: 923D423D
	s_and_b32 s84, s84, 0xffffff                               // 000000002E58: 8654FF54 00FFFFFF
	s_mul_i32 s60, s84, s68                                    // 000000002E60: 923C4454
	s_add_u32 s60, s61, s60                                    // 000000002E64: 803C3C3D
	v_add_u32_e64 v28, v50, s60                                // 000000002E68: D134001C 00007932
	s_lshr_b32 s61, s85, 24                                    // 000000002E70: 8F3D9855
	s_mul_i32 s61, s61, s68                                    // 000000002E74: 923D443D
	s_mul_i32 s61, s61, s66                                    // 000000002E78: 923D423D
	s_and_b32 s85, s85, 0xffffff                               // 000000002E7C: 8655FF55 00FFFFFF
	s_mul_i32 s60, s85, s68                                    // 000000002E84: 923C4455
	s_add_u32 s60, s61, s60                                    // 000000002E88: 803C3C3D
	v_add_u32_e64 v29, v50, s60                                // 000000002E8C: D134001D 00007932
	s_lshr_b32 s61, s86, 24                                    // 000000002E94: 8F3D9856
	s_mul_i32 s61, s61, s68                                    // 000000002E98: 923D443D
	s_mul_i32 s61, s61, s66                                    // 000000002E9C: 923D423D
	s_and_b32 s86, s86, 0xffffff                               // 000000002EA0: 8656FF56 00FFFFFF
	s_mul_i32 s60, s86, s68                                    // 000000002EA8: 923C4456
	s_add_u32 s60, s61, s60                                    // 000000002EAC: 803C3C3D
	v_add_u32_e64 v30, v50, s60                                // 000000002EB0: D134001E 00007932
	s_lshr_b32 s61, s87, 24                                    // 000000002EB8: 8F3D9857
	s_mul_i32 s61, s61, s68                                    // 000000002EBC: 923D443D
	s_mul_i32 s61, s61, s66                                    // 000000002EC0: 923D423D
	s_and_b32 s87, s87, 0xffffff                               // 000000002EC4: 8657FF57 00FFFFFF
	s_mul_i32 s60, s87, s68                                    // 000000002ECC: 923C4457
	s_add_u32 s60, s61, s60                                    // 000000002ED0: 803C3C3D
	v_add_u32_e64 v31, v50, s60                                // 000000002ED4: D134001F 00007932
	s_lshr_b32 s61, s88, 24                                    // 000000002EDC: 8F3D9858
	s_mul_i32 s61, s61, s68                                    // 000000002EE0: 923D443D
	s_mul_i32 s61, s61, s66                                    // 000000002EE4: 923D423D
	s_and_b32 s88, s88, 0xffffff                               // 000000002EE8: 8658FF58 00FFFFFF
	s_mul_i32 s60, s88, s68                                    // 000000002EF0: 923C4458
	s_add_u32 s60, s61, s60                                    // 000000002EF4: 803C3C3D
	v_add_u32_e64 v32, v50, s60                                // 000000002EF8: D1340020 00007932
	s_lshr_b32 s61, s89, 24                                    // 000000002F00: 8F3D9859
	s_mul_i32 s61, s61, s68                                    // 000000002F04: 923D443D
	s_mul_i32 s61, s61, s66                                    // 000000002F08: 923D423D
	s_and_b32 s89, s89, 0xffffff                               // 000000002F0C: 8659FF59 00FFFFFF
	s_mul_i32 s60, s89, s68                                    // 000000002F14: 923C4459
	s_add_u32 s60, s61, s60                                    // 000000002F18: 803C3C3D
	v_add_u32_e64 v33, v50, s60                                // 000000002F1C: D1340021 00007932
	v_lshlrev_b32_e32 v50, 2, v0                               // 000000002F24: 24640082
	s_mul_i32 s60, s82, s71                                    // 000000002F28: 923C4752
	v_add_u32_e64 v80, v50, s60                                // 000000002F2C: D1340050 00007932
	v_mov_b32_e32 v81, 0                                       // 000000002F34: 7EA20280
	s_mul_i32 s60, s83, s71                                    // 000000002F38: 923C4753
	v_add_u32_e64 v82, v50, s60                                // 000000002F3C: D1340052 00007932
	v_mov_b32_e32 v83, 0                                       // 000000002F44: 7EA60280
	s_mul_i32 s60, s84, s71                                    // 000000002F48: 923C4754
	v_add_u32_e64 v84, v50, s60                                // 000000002F4C: D1340054 00007932
	v_mov_b32_e32 v85, 0                                       // 000000002F54: 7EAA0280
	s_mul_i32 s60, s85, s71                                    // 000000002F58: 923C4755
	v_add_u32_e64 v86, v50, s60                                // 000000002F5C: D1340056 00007932
	v_mov_b32_e32 v87, 0                                       // 000000002F64: 7EAE0280
	s_mul_i32 s60, s86, s71                                    // 000000002F68: 923C4756
	v_add_u32_e64 v88, v50, s60                                // 000000002F6C: D1340058 00007932
	v_mov_b32_e32 v89, 0                                       // 000000002F74: 7EB20280
	s_mul_i32 s60, s87, s71                                    // 000000002F78: 923C4757
	v_add_u32_e64 v90, v50, s60                                // 000000002F7C: D134005A 00007932
	v_mov_b32_e32 v91, 0                                       // 000000002F84: 7EB60280
	s_mul_i32 s60, s88, s71                                    // 000000002F88: 923C4758
	v_add_u32_e64 v92, v50, s60                                // 000000002F8C: D134005C 00007932
	v_mov_b32_e32 v93, 0                                       // 000000002F94: 7EBA0280
	s_mul_i32 s60, s89, s71                                    // 000000002F98: 923C4759
	v_add_u32_e64 v94, v50, s60                                // 000000002F9C: D134005E 00007932
	v_mov_b32_e32 v95, 0                                       // 000000002FA4: 7EBE0280
	s_mul_i32 s60, s7, 0x820                                   // 000000002FA8: 923CFF07 00000820
	s_add_u32 s50, 0, s60                                      // 000000002FB0: 80323C80
	s_add_u32 s51, 0x2080, s50                                 // 000000002FB4: 803332FF 00002080
	v_lshrrev_b32_e32 v50, 4, v0                               // 000000002FBC: 20640084
	v_lshlrev_b32_e32 v51, 2, v50                              // 000000002FC0: 24666482
	v_and_b32_e32 v50, 15, v0                                  // 000000002FC4: 2664008F
	v_lshrrev_b32_e32 v52, 2, v50                              // 000000002FC8: 20686482
	v_lshlrev_b32_e32 v52, 6, v52                              // 000000002FCC: 24686886
	v_add_u32_e32 v51, v52, v51                                // 000000002FD0: 68666734
	v_and_b32_e32 v50, 3, v0                                   // 000000002FD4: 26640083
	v_mul_i32_i24_e32 v52, 0x208, v50                          // 000000002FD8: 0C6864FF 00000208
	v_add_u32_e32 v51, v52, v51                                // 000000002FE0: 68666734
	v_lshlrev_b32_e32 v2, 2, v51                               // 000000002FE4: 24046682
	s_mul_i32 s60, s2, 0x1c0                                   // 000000002FE8: 923CFF02 000001C0
	s_mul_i32 s60, s60, s69                                    // 000000002FF0: 923C453C
	s_mul_i32 s61, s5, s72                                     // 000000002FF4: 923D4805
	s_add_u32 s60, s61, s60                                    // 000000002FF8: 803C3C3D
	s_add_u32 s24, s60, s24                                    // 000000002FFC: 8018183C
	s_addc_u32 s25, 0, s25                                     // 000000003000: 82191980
	s_mul_i32 s60, s7, 16                                      // 000000003004: 923C9007
	s_mul_i32 s60, s60, s69                                    // 000000003008: 923C453C
	v_lshlrev_b32_e32 v34, 4, v0                               // 00000000300C: 24440084
	v_add_u32_e32 v34, s60, v34                                // 000000003010: 6844443C
	s_mul_i32 s60, 64, s69                                     // 000000003014: 923C45C0
	v_add_u32_e32 v35, s60, v34                                // 000000003018: 6846443C
	v_add_u32_e32 v36, s60, v35                                // 00000000301C: 6848463C
	v_add_u32_e32 v37, s60, v36                                // 000000003020: 684A483C
	v_add_u32_e32 v38, s60, v37                                // 000000003024: 684C4A3C
	v_add_u32_e32 v39, s60, v38                                // 000000003028: 684E4C3C
	v_add_u32_e32 v40, s60, v39                                // 00000000302C: 68504E3C
	s_mul_i32 s60, s2, 0x1c00                                  // 000000003030: 923CFF02 00001C00
	s_mul_i32 s61, s5, s73                                     // 000000003038: 923D4905
	s_add_u32 s60, s61, s60                                    // 00000000303C: 803C3C3D
	s_add_u32 s12, s60, s12                                    // 000000003040: 800C0C3C
	s_addc_u32 s13, 0, s13                                     // 000000003044: 820D0D80
	s_mul_i32 s60, s7, 16                                      // 000000003048: 923C9007
	s_mul_i32 s60, s60, s70                                    // 00000000304C: 923C463C
	v_lshlrev_b32_e32 v41, 4, v0                               // 000000003050: 24520084
	v_add_u32_e32 v41, s60, v41                                // 000000003054: 6852523C
	s_mul_i32 s60, 64, s70                                     // 000000003058: 923C46C0
	v_add_u32_e32 v42, s60, v41                                // 00000000305C: 6854523C
	v_add_u32_e32 v43, s60, v42                                // 000000003060: 6856543C
	v_add_u32_e32 v44, s60, v43                                // 000000003064: 6858563C
	s_mul_i32 s60, s3, 32                                      // 000000003068: 923CA003
	s_mul_i32 s60, 4, s60                                      // 00000000306C: 923C3C84
	s_add_u32 s40, s60, s40                                    // 000000003070: 8028283C
	s_addc_u32 s41, 0, s41                                     // 000000003074: 82292980
	v_and_b32_e32 v50, 15, v0                                  // 000000003078: 2664008F
	v_lshlrev_b32_e32 v8, 2, v50                               // 00000000307C: 24106482
	v_add_u32_e32 v9, 64, v8                                   // 000000003080: 681210C0
	v_lshrrev_b32_e32 v50, 4, v0                               // 000000003084: 20640084
	v_lshlrev_b32_e32 v51, 2, v50                              // 000000003088: 24666482
	v_and_b32_e32 v50, 15, v0                                  // 00000000308C: 2664008F
	v_lshrrev_b32_e32 v52, 2, v50                              // 000000003090: 20686482
	v_lshlrev_b32_e32 v52, 6, v52                              // 000000003094: 24686886
	v_add_u32_e32 v51, v52, v51                                // 000000003098: 68666734
	v_and_b32_e32 v50, 3, v0                                   // 00000000309C: 26640083
	v_add_u32_e32 v51, v50, v51                                // 0000000030A0: 68666732
	v_lshlrev_b32_e32 v10, 2, v51                              // 0000000030A4: 24146682
	v_add_u32_e32 v11, 0x400, v10                              // 0000000030A8: 681614FF 00000400
	s_mul_i32 s60, s7, 16                                      // 0000000030B0: 923C9007
	s_mul_i32 s60, s60, 4                                      // 0000000030B4: 923C843C
	v_add_u32_e32 v10, s60, v10                                // 0000000030B8: 6814143C
	v_add_u32_e32 v11, s60, v11                                // 0000000030BC: 6816163C
	v_mov_b32_e32 v5, v10                                      // 0000000030C0: 7E0A030A
	s_mul_i32 s60, s2, 0x1c0                                   // 0000000030C4: 923CFF02 000001C0
	s_mul_i32 s60, s60, 4                                      // 0000000030CC: 923C843C
	s_mul_i32 s61, s5, s74                                     // 0000000030D0: 923D4A05
	s_add_u32 s61, s61, s60                                    // 0000000030D4: 803D3C3D
	s_mul_i32 s62, s5, s76                                     // 0000000030D8: 923E4C05
	s_add_u32 s62, s62, s60                                    // 0000000030DC: 803E3C3E
	s_add_u32 s32, s61, s32                                    // 0000000030E0: 8020203D
	s_addc_u32 s33, 0, s33                                     // 0000000030E4: 82212180
	s_add_u32 s36, s62, s36                                    // 0000000030E8: 8024243E
	s_addc_u32 s37, 0, s37                                     // 0000000030EC: 82252580
	s_mul_i32 s60, s5, s75                                     // 0000000030F0: 923C4B05
	s_add_u32 s16, s60, s16                                    // 0000000030F4: 8010103C
	s_addc_u32 s17, 0, s17                                     // 0000000030F8: 82111180
	s_mov_b32 s57, 0x100                                       // 0000000030FC: BEB900FF 00000100
	s_mov_b32 s58, 0x1000                                      // 000000003104: BEBA00FF 00001000
	s_mov_b32 s79, 0x400                                       // 00000000310C: BECF00FF 00000400
	s_mov_b32 s59, 0x200                                       // 000000003114: BEBB00FF 00000200
	s_mul_i32 s60, s70, 0x100                                  // 00000000311C: 923CFF46 00000100
	s_mov_b32 s78, 0x400                                       // 000000003124: BECE00FF 00000400
	s_mul_i32 s61, s78, 6                                      // 00000000312C: 923D864E
	s_sub_u32 s56, s60, s61                                    // 000000003130: 80B83D3C
	s_mov_b32 s52, 0x7060302                                   // 000000003134: BEB400FF 07060302
	s_mov_b32 s53, 0x400                                       // 00000000313C: BEB500FF 00000400
	s_mov_b32 s54, 0x40100                                     // 000000003144: BEB600FF 00040100
	s_mov_b32 s55, 0x4020100                                   // 00000000314C: BEB700FF 04020100
	s_mov_b32 s6, 0x3fb8aa3b                                   // 000000003154: BE8600FF 3FB8AA3B
	s_mov_b32 s77, 0xbd92220c                                  // 00000000315C: BECD00FF BD92220C
	s_mov_b32 m0, s50                                          // 000000003164: BEFC0032
	v_mov_b32_e32 v1, 0xbfcc4231                               // 000000003168: 7E0202FF BFCC4231
	v_mov_b32_e32 v46, 0xffff0000                              // 000000003170: 7E5C02FF FFFF0000
	v_mov_b32_e32 v47, 0x7fff0000                              // 000000003178: 7E5E02FF 7FFF0000
	v_mov_b32_e32 v48, 0x7fff                                  // 000000003180: 7E6002FF 00007FFF
	s_waitcnt vmcnt(0) expcnt(0) lgkmcnt(0)                    // 000000003188: BF8C0000
	v_lshrrev_b32_e32 v50, 24, v6                              // 00000000318C: 20640C98
	v_mul_i32_i24_e32 v50, s66, v50                            // 000000003190: 0C646442
	v_and_b32_e32 v51, 0xffffff, v6                            // 000000003194: 26660CFF 00FFFFFF
	v_add_u32_e32 v6, v50, v51                                 // 00000000319C: 680C6732
	v_lshrrev_b32_e32 v50, 24, v7                              // 0000000031A0: 20640E98
	v_mul_i32_i24_e32 v50, s66, v50                            // 0000000031A4: 0C646442
	v_and_b32_e32 v51, 0xffffff, v7                            // 0000000031A8: 26660EFF 00FFFFFF
	v_add_u32_e32 v7, v50, v51                                 // 0000000031B0: 680E6732
	v_lshlrev_b32_e32 v6, 2, v6                                // 0000000031B4: 240C0C82
	v_lshlrev_b32_e32 v7, 2, v7                                // 0000000031B8: 240E0E82
	buffer_load_dword v14, v6, s[28:31], 0 offen               // 0000000031BC: E0501000 80070E06
	buffer_load_dword v15, v7, s[28:31], 0 offen               // 0000000031C4: E0501000 80070F07
	buffer_load_dword v16, v10, s[32:35], 0 offen              // 0000000031CC: E0501000 8008100A
	buffer_load_dword v17, v11, s[32:35], 0 offen              // 0000000031D4: E0501000 8008110B
	buffer_load_dword v18, v10, s[36:39], 0 offen              // 0000000031DC: E0501000 8009120A
	buffer_load_dword v19, v11, s[36:39], 0 offen              // 0000000031E4: E0501000 8009130B
	buffer_load_dword v20, v8, s[40:43], 0 offen               // 0000000031EC: E0501000 800A1408
	buffer_load_dword v21, v9, s[40:43], 0 offen               // 0000000031F4: E0501000 800A1509
	buffer_load_dword v26, s[20:23], 0 offen lds               // 0000000031FC: E0511000 8005001A
	s_add_u32 m0, 0x100, s50                                   // 000000003204: 807C32FF 00000100
	buffer_load_dword v27, s[20:23], 0 offen lds               // 00000000320C: E0511000 8005001B
	s_add_u32 m0, 0x200, s50                                   // 000000003214: 807C32FF 00000200
	buffer_load_dword v28, s[20:23], 0 offen lds               // 00000000321C: E0511000 8005001C
	s_add_u32 m0, 0x300, s50                                   // 000000003224: 807C32FF 00000300
	buffer_load_dword v29, s[20:23], 0 offen lds               // 00000000322C: E0511000 8005001D
	s_add_u32 m0, 0x400, s50                                   // 000000003234: 807C32FF 00000400
	buffer_load_dword v30, s[20:23], 0 offen lds               // 00000000323C: E0511000 8005001E
	s_add_u32 m0, 0x500, s50                                   // 000000003244: 807C32FF 00000500
	buffer_load_dword v31, s[20:23], 0 offen lds               // 00000000324C: E0511000 8005001F
	s_add_u32 m0, 0x600, s50                                   // 000000003254: 807C32FF 00000600
	buffer_load_dword v32, s[20:23], 0 offen lds               // 00000000325C: E0511000 80050020
	s_add_u32 m0, 0x700, s50                                   // 000000003264: 807C32FF 00000700
	buffer_load_dword v33, s[20:23], 0 offen lds               // 00000000326C: E0511000 80050021
	s_add_u32 m0, 0, s51                                       // 000000003274: 807C3380
	s_add_u32 s20, s57, s20                                    // 000000003278: 80141439
	s_addc_u32 s21, 0, s21                                     // 00000000327C: 82151580
	buffer_load_dword v26, s[20:23], 0 offen lds               // 000000003280: E0511000 8005001A
	s_add_u32 m0, 0x100, s51                                   // 000000003288: 807C33FF 00000100
	buffer_load_dword v27, s[20:23], 0 offen lds               // 000000003290: E0511000 8005001B
	s_add_u32 m0, 0x200, s51                                   // 000000003298: 807C33FF 00000200
	buffer_load_dword v28, s[20:23], 0 offen lds               // 0000000032A0: E0511000 8005001C
	s_add_u32 m0, 0x300, s51                                   // 0000000032A8: 807C33FF 00000300
	buffer_load_dword v29, s[20:23], 0 offen lds               // 0000000032B0: E0511000 8005001D
	s_add_u32 m0, 0x400, s51                                   // 0000000032B8: 807C33FF 00000400
	buffer_load_dword v30, s[20:23], 0 offen lds               // 0000000032C0: E0511000 8005001E
	s_add_u32 m0, 0x500, s51                                   // 0000000032C8: 807C33FF 00000500
	buffer_load_dword v31, s[20:23], 0 offen lds               // 0000000032D0: E0511000 8005001F
	s_add_u32 m0, 0x600, s51                                   // 0000000032D8: 807C33FF 00000600
	buffer_load_dword v32, s[20:23], 0 offen lds               // 0000000032E0: E0511000 80050020
	s_add_u32 m0, 0x700, s51                                   // 0000000032E8: 807C33FF 00000700
	buffer_load_dword v33, s[20:23], 0 offen lds               // 0000000032F0: E0511000 80050021
	s_add_u32 m0, 0, s50                                       // 0000000032F8: 807C3280
	s_add_u32 s20, s57, s20                                    // 0000000032FC: 80141439
	s_addc_u32 s21, 0, s21                                     // 000000003300: 82151580
	buffer_load_dwordx4 a[0:3], v34, s[24:27], 0 offen         // 000000003304: E05C1000 80860022
	buffer_load_dwordx4 a[4:7], v34, s[24:27], 0 offen offset:1024// 00000000330C: E05C1400 80860422
	buffer_load_dwordx4 a[8:11], v34, s[24:27], 0 offen offset:2048// 000000003314: E05C1800 80860822
	buffer_load_dwordx4 a[12:15], v34, s[24:27], 0 offen offset:3072// 00000000331C: E05C1C00 80860C22
	buffer_load_dwordx4 a[16:19], v35, s[24:27], 0 offen       // 000000003324: E05C1000 80861023
	buffer_load_dwordx4 a[20:23], v35, s[24:27], 0 offen offset:1024// 00000000332C: E05C1400 80861423
	buffer_load_dwordx4 a[24:27], v35, s[24:27], 0 offen offset:2048// 000000003334: E05C1800 80861823
	buffer_load_dwordx4 a[28:31], v35, s[24:27], 0 offen offset:3072// 00000000333C: E05C1C00 80861C23
	buffer_load_dwordx4 a[32:35], v36, s[24:27], 0 offen       // 000000003344: E05C1000 80862024
	buffer_load_dwordx4 a[36:39], v36, s[24:27], 0 offen offset:1024// 00000000334C: E05C1400 80862424
	buffer_load_dwordx4 a[40:43], v36, s[24:27], 0 offen offset:2048// 000000003354: E05C1800 80862824
	buffer_load_dwordx4 a[44:47], v36, s[24:27], 0 offen offset:3072// 00000000335C: E05C1C00 80862C24
	buffer_load_dwordx4 a[48:51], v37, s[24:27], 0 offen       // 000000003364: E05C1000 80863025
	buffer_load_dwordx4 a[52:55], v37, s[24:27], 0 offen offset:1024// 00000000336C: E05C1400 80863425
	buffer_load_dwordx4 a[56:59], v37, s[24:27], 0 offen offset:2048// 000000003374: E05C1800 80863825
	buffer_load_dwordx4 a[60:63], v37, s[24:27], 0 offen offset:3072// 00000000337C: E05C1C00 80863C25
	buffer_load_dwordx4 a[64:67], v38, s[24:27], 0 offen       // 000000003384: E05C1000 80864026
	buffer_load_dwordx4 a[68:71], v38, s[24:27], 0 offen offset:1024// 00000000338C: E05C1400 80864426
	buffer_load_dwordx4 a[72:75], v38, s[24:27], 0 offen offset:2048// 000000003394: E05C1800 80864826
	buffer_load_dwordx4 a[76:79], v38, s[24:27], 0 offen offset:3072// 00000000339C: E05C1C00 80864C26
	buffer_load_dwordx4 a[80:83], v39, s[24:27], 0 offen       // 0000000033A4: E05C1000 80865027
	buffer_load_dwordx4 a[84:87], v39, s[24:27], 0 offen offset:1024// 0000000033AC: E05C1400 80865427
	buffer_load_dwordx4 a[88:91], v39, s[24:27], 0 offen offset:2048// 0000000033B4: E05C1800 80865827
	buffer_load_dwordx4 a[92:95], v39, s[24:27], 0 offen offset:3072// 0000000033BC: E05C1C00 80865C27
	buffer_load_dwordx4 a[96:99], v40, s[24:27], 0 offen       // 0000000033C4: E05C1000 80866028
	buffer_load_dwordx4 a[100:103], v40, s[24:27], 0 offen offset:1024// 0000000033CC: E05C1400 80866428
	buffer_load_dwordx4 a[104:107], v40, s[24:27], 0 offen offset:2048// 0000000033D4: E05C1800 80866828
	buffer_load_dwordx4 a[108:111], v40, s[24:27], 0 offen offset:3072// 0000000033DC: E05C1C00 80866C28
	s_add_u32 s24, s58, s24                                    // 0000000033E4: 8018183A
	s_addc_u32 s25, 0, s25                                     // 0000000033E8: 82191980
	v_mov_b32_e32 v128, 0                                      // 0000000033EC: 7F000280
	v_mov_b32_e32 v129, 0                                      // 0000000033F0: 7F020280
	v_mov_b32_e32 v130, 0                                      // 0000000033F4: 7F040280
	v_mov_b32_e32 v131, 0                                      // 0000000033F8: 7F060280
	v_mov_b32_e32 v132, 0                                      // 0000000033FC: 7F080280
	v_mov_b32_e32 v133, 0                                      // 000000003400: 7F0A0280
	v_mov_b32_e32 v134, 0                                      // 000000003404: 7F0C0280
	v_mov_b32_e32 v135, 0                                      // 000000003408: 7F0E0280
	v_mov_b32_e32 v136, 0                                      // 00000000340C: 7F100280
	v_mov_b32_e32 v137, 0                                      // 000000003410: 7F120280
	v_mov_b32_e32 v138, 0                                      // 000000003414: 7F140280
	v_mov_b32_e32 v139, 0                                      // 000000003418: 7F160280
	v_mov_b32_e32 v140, 0                                      // 00000000341C: 7F180280
	v_mov_b32_e32 v141, 0                                      // 000000003420: 7F1A0280
	v_mov_b32_e32 v142, 0                                      // 000000003424: 7F1C0280
	v_mov_b32_e32 v143, 0                                      // 000000003428: 7F1E0280
	v_mov_b32_e32 v144, 0                                      // 00000000342C: 7F200280
	v_mov_b32_e32 v145, 0                                      // 000000003430: 7F220280
	v_mov_b32_e32 v146, 0                                      // 000000003434: 7F240280
	v_mov_b32_e32 v147, 0                                      // 000000003438: 7F260280
	v_mov_b32_e32 v148, 0                                      // 00000000343C: 7F280280
	v_mov_b32_e32 v149, 0                                      // 000000003440: 7F2A0280
	v_mov_b32_e32 v150, 0                                      // 000000003444: 7F2C0280
	v_mov_b32_e32 v151, 0                                      // 000000003448: 7F2E0280
	v_mov_b32_e32 v152, 0                                      // 00000000344C: 7F300280
	v_mov_b32_e32 v153, 0                                      // 000000003450: 7F320280
	v_mov_b32_e32 v154, 0                                      // 000000003454: 7F340280
	v_mov_b32_e32 v155, 0                                      // 000000003458: 7F360280
	v_mov_b32_e32 v156, 0                                      // 00000000345C: 7F380280
	v_mov_b32_e32 v157, 0                                      // 000000003460: 7F3A0280
	v_mov_b32_e32 v158, 0                                      // 000000003464: 7F3C0280
	v_mov_b32_e32 v159, 0                                      // 000000003468: 7F3E0280
	v_mov_b32_e32 v160, 0                                      // 00000000346C: 7F400280
	v_mov_b32_e32 v161, 0                                      // 000000003470: 7F420280
	v_mov_b32_e32 v162, 0                                      // 000000003474: 7F440280
	v_mov_b32_e32 v163, 0                                      // 000000003478: 7F460280
	v_mov_b32_e32 v164, 0                                      // 00000000347C: 7F480280
	v_mov_b32_e32 v165, 0                                      // 000000003480: 7F4A0280
	v_mov_b32_e32 v166, 0                                      // 000000003484: 7F4C0280
	v_mov_b32_e32 v167, 0                                      // 000000003488: 7F4E0280
	v_mov_b32_e32 v168, 0                                      // 00000000348C: 7F500280
	v_mov_b32_e32 v169, 0                                      // 000000003490: 7F520280
	v_mov_b32_e32 v170, 0                                      // 000000003494: 7F540280
	v_mov_b32_e32 v171, 0                                      // 000000003498: 7F560280
	v_mov_b32_e32 v172, 0                                      // 00000000349C: 7F580280
	v_mov_b32_e32 v173, 0                                      // 0000000034A0: 7F5A0280
	v_mov_b32_e32 v174, 0                                      // 0000000034A4: 7F5C0280
	v_mov_b32_e32 v175, 0                                      // 0000000034A8: 7F5E0280
	v_mov_b32_e32 v176, 0                                      // 0000000034AC: 7F600280
	v_mov_b32_e32 v177, 0                                      // 0000000034B0: 7F620280
	v_mov_b32_e32 v178, 0                                      // 0000000034B4: 7F640280
	v_mov_b32_e32 v179, 0                                      // 0000000034B8: 7F660280
	v_mov_b32_e32 v180, 0                                      // 0000000034BC: 7F680280
	v_mov_b32_e32 v181, 0                                      // 0000000034C0: 7F6A0280
	v_mov_b32_e32 v182, 0                                      // 0000000034C4: 7F6C0280
	v_mov_b32_e32 v183, 0                                      // 0000000034C8: 7F6E0280
	v_lshrrev_b32_e32 v50, 4, v0                               // 0000000034CC: 20640084
	v_mul_i32_i24_e32 v3, 34, v50                              // 0000000034D0: 0C0664A2
	v_and_b32_e32 v50, 15, v0                                  // 0000000034D4: 2664008F
	v_mul_i32_i24_e32 v51, 2, v50                              // 0000000034D8: 0C666482
	v_add_u32_e32 v3, v51, v3                                  // 0000000034DC: 68060733
	s_mul_i32 s60, s7, 0x88                                    // 0000000034E0: 923CFF07 00000088
	v_add_u32_e32 v3, s60, v3                                  // 0000000034E8: 6806063C
	v_lshlrev_b32_e32 v3, 2, v3                                // 0000000034EC: 24060682
	v_lshrrev_b32_e32 v50, 1, v0                               // 0000000034F0: 20640081
	v_mul_i32_i24_e32 v4, 34, v50                              // 0000000034F4: 0C0864A2
	v_and_b32_e32 v51, 1, v0                                   // 0000000034F8: 26660081
	v_add_u32_e32 v4, v51, v4                                  // 0000000034FC: 68080933
	s_mul_i32 s60, s7, 2                                       // 000000003500: 923C8207
	v_add_u32_e32 v4, s60, v4                                  // 000000003504: 6808083C
	v_lshlrev_b32_e32 v4, 2, v4                                // 000000003508: 24080882
	s_waitcnt vmcnt(36)                                        // 00000000350C: BF8C8F74
	s_barrier                                                  // 000000003510: BF8A0000
	ds_read_b128 v[184:187], v2                                // 000000003514: D9FE0000 B8000002
	ds_read_b128 v[188:191], v2 offset:64                      // 00000000351C: D9FE0040 BC000002
	ds_read_b128 v[192:195], v2 offset:128                     // 000000003524: D9FE0080 C0000002
	ds_read_b128 v[196:199], v2 offset:192                     // 00000000352C: D9FE00C0 C4000002
	ds_read_b128 v[200:203], v2 offset:1024                    // 000000003534: D9FE0400 C8000002
	ds_read_b128 v[204:207], v2 offset:1088                    // 00000000353C: D9FE0440 CC000002
	ds_read_b128 v[208:211], v2 offset:1152                    // 000000003544: D9FE0480 D0000002
	ds_read_b128 v[212:215], v2 offset:1216                    // 00000000354C: D9FE04C0 D4000002
	s_cmp_lt_i32 s7, 2                                         // 000000003554: BF048207
	s_cbranch_scc0 label_1190                                  // 000000003558: BF840EF9

000000000000355c <label_0297>:
	s_waitcnt vmcnt(20) lgkmcnt(0)                             // 00000000355C: BF8C4074
	s_barrier                                                  // 000000003560: BF8A0000
	v_mfma_i32_16x16x32_i8 v[128:131], a[0:1], v[184:185], v[128:131]// 000000003564: D3D70080 0E037100
	v_mfma_i32_16x16x32_i8 v[128:131], a[2:3], v[186:187], v[128:131]// 00000000356C: D3D70080 0E037502
	buffer_load_dwordx4 a[112:115], v34, s[24:27], 0 offen     // 000000003574: E05C1000 80867022
	v_mfma_i32_16x16x32_i8 v[128:131], a[4:5], v[188:189], v[128:131]// 00000000357C: D3D70080 0E037904
	v_mfma_i32_16x16x32_i8 v[128:131], a[6:7], v[190:191], v[128:131]// 000000003584: D3D70080 0E037D06
	buffer_load_dword v26, s[20:23], 0 offen lds               // 00000000358C: E0511000 8005001A
	s_add_u32 m0, 0x100, s50                                   // 000000003594: 807C32FF 00000100
	v_mfma_i32_16x16x32_i8 v[128:131], a[8:9], v[192:193], v[128:131]// 00000000359C: D3D70080 0E038108
	v_mfma_i32_16x16x32_i8 v[128:131], a[10:11], v[194:195], v[128:131]// 0000000035A4: D3D70080 0E03850A
	buffer_load_dwordx4 a[116:119], v34, s[24:27], 0 offen offset:1024// 0000000035AC: E05C1400 80867422
	v_mfma_i32_16x16x32_i8 v[128:131], a[12:13], v[196:197], v[128:131]// 0000000035B4: D3D70080 0E03890C
	v_mfma_i32_16x16x32_i8 v[128:131], a[14:15], v[198:199], v[128:131]// 0000000035BC: D3D70080 0E038D0E
	buffer_load_dword v27, s[20:23], 0 offen lds               // 0000000035C4: E0511000 8005001B
	s_add_u32 m0, 0x200, s50                                   // 0000000035CC: 807C32FF 00000200
	v_mfma_i32_16x16x32_i8 v[132:135], a[0:1], v[200:201], v[132:135]// 0000000035D4: D3D70084 0E139100
	v_mfma_i32_16x16x32_i8 v[132:135], a[2:3], v[202:203], v[132:135]// 0000000035DC: D3D70084 0E139502
	buffer_load_dwordx4 a[120:123], v34, s[24:27], 0 offen offset:2048// 0000000035E4: E05C1800 80867822
	v_mfma_i32_16x16x32_i8 v[132:135], a[4:5], v[204:205], v[132:135]// 0000000035EC: D3D70084 0E139904
	v_mfma_i32_16x16x32_i8 v[132:135], a[6:7], v[206:207], v[132:135]// 0000000035F4: D3D70084 0E139D06
	buffer_load_dword v28, s[20:23], 0 offen lds               // 0000000035FC: E0511000 8005001C
	s_add_u32 m0, 0x300, s50                                   // 000000003604: 807C32FF 00000300
	v_mfma_i32_16x16x32_i8 v[132:135], a[8:9], v[208:209], v[132:135]// 00000000360C: D3D70084 0E13A108
	v_mfma_i32_16x16x32_i8 v[132:135], a[10:11], v[210:211], v[132:135]// 000000003614: D3D70084 0E13A50A
	buffer_load_dwordx4 a[124:127], v34, s[24:27], 0 offen offset:3072// 00000000361C: E05C1C00 80867C22
	v_mfma_i32_16x16x32_i8 v[132:135], a[12:13], v[212:213], v[132:135]// 000000003624: D3D70084 0E13A90C
	v_mfma_i32_16x16x32_i8 v[132:135], a[14:15], v[214:215], v[132:135]// 00000000362C: D3D70084 0E13AD0E
	buffer_load_dword v29, s[20:23], 0 offen lds               // 000000003634: E0511000 8005001D
	s_add_u32 m0, 0x400, s50                                   // 00000000363C: 807C32FF 00000400
	v_mfma_i32_16x16x32_i8 v[136:139], a[16:17], v[184:185], v[136:139]// 000000003644: D3D70088 0E237110
	v_mfma_i32_16x16x32_i8 v[136:139], a[18:19], v[186:187], v[136:139]// 00000000364C: D3D70088 0E237512
	buffer_load_dwordx4 a[128:131], v35, s[24:27], 0 offen     // 000000003654: E05C1000 80868023
	v_mfma_i32_16x16x32_i8 v[136:139], a[20:21], v[188:189], v[136:139]// 00000000365C: D3D70088 0E237914
	v_mfma_i32_16x16x32_i8 v[136:139], a[22:23], v[190:191], v[136:139]// 000000003664: D3D70088 0E237D16
	buffer_load_dword v30, s[20:23], 0 offen lds               // 00000000366C: E0511000 8005001E
	s_add_u32 m0, 0x500, s50                                   // 000000003674: 807C32FF 00000500
	v_mfma_i32_16x16x32_i8 v[136:139], a[24:25], v[192:193], v[136:139]// 00000000367C: D3D70088 0E238118
	v_mfma_i32_16x16x32_i8 v[136:139], a[26:27], v[194:195], v[136:139]// 000000003684: D3D70088 0E23851A
	buffer_load_dwordx4 a[132:135], v35, s[24:27], 0 offen offset:1024// 00000000368C: E05C1400 80868423
	v_mfma_i32_16x16x32_i8 v[136:139], a[28:29], v[196:197], v[136:139]// 000000003694: D3D70088 0E23891C
	v_mfma_i32_16x16x32_i8 v[136:139], a[30:31], v[198:199], v[136:139]// 00000000369C: D3D70088 0E238D1E
	buffer_load_dword v31, s[20:23], 0 offen lds               // 0000000036A4: E0511000 8005001F
	s_add_u32 m0, 0x600, s50                                   // 0000000036AC: 807C32FF 00000600
	v_mfma_i32_16x16x32_i8 v[140:143], a[16:17], v[200:201], v[140:143]// 0000000036B4: D3D7008C 0E339110
	v_mfma_i32_16x16x32_i8 v[140:143], a[18:19], v[202:203], v[140:143]// 0000000036BC: D3D7008C 0E339512
	buffer_load_dwordx4 a[136:139], v35, s[24:27], 0 offen offset:2048// 0000000036C4: E05C1800 80868823
	v_mfma_i32_16x16x32_i8 v[140:143], a[20:21], v[204:205], v[140:143]// 0000000036CC: D3D7008C 0E339914
	v_mfma_i32_16x16x32_i8 v[140:143], a[22:23], v[206:207], v[140:143]// 0000000036D4: D3D7008C 0E339D16
	buffer_load_dword v32, s[20:23], 0 offen lds               // 0000000036DC: E0511000 80050020
	s_add_u32 m0, 0x700, s50                                   // 0000000036E4: 807C32FF 00000700
	v_mfma_i32_16x16x32_i8 v[140:143], a[24:25], v[208:209], v[140:143]// 0000000036EC: D3D7008C 0E33A118
	v_mfma_i32_16x16x32_i8 v[140:143], a[26:27], v[210:211], v[140:143]// 0000000036F4: D3D7008C 0E33A51A
	buffer_load_dwordx4 a[140:143], v35, s[24:27], 0 offen offset:3072// 0000000036FC: E05C1C00 80868C23
	v_mfma_i32_16x16x32_i8 v[140:143], a[28:29], v[212:213], v[140:143]// 000000003704: D3D7008C 0E33A91C
	v_mfma_i32_16x16x32_i8 v[140:143], a[30:31], v[214:215], v[140:143]// 00000000370C: D3D7008C 0E33AD1E
	buffer_load_dword v33, s[20:23], 0 offen lds               // 000000003714: E0511000 80050021
	s_add_u32 m0, 0, s51                                       // 00000000371C: 807C3380
	s_waitcnt vmcnt(32)                                        // 000000003720: BF8C8F70
	v_mfma_i32_16x16x32_i8 v[144:147], a[32:33], v[184:185], v[144:147]// 000000003724: D3D70090 0E437120
	v_mfma_i32_16x16x32_i8 v[144:147], a[34:35], v[186:187], v[144:147]// 00000000372C: D3D70090 0E437522
	buffer_load_dwordx4 a[144:147], v36, s[24:27], 0 offen     // 000000003734: E05C1000 80869024
	v_mfma_i32_16x16x32_i8 v[144:147], a[36:37], v[188:189], v[144:147]// 00000000373C: D3D70090 0E437924
	v_mfma_i32_16x16x32_i8 v[144:147], a[38:39], v[190:191], v[144:147]// 000000003744: D3D70090 0E437D26
	ds_read_b128 v[216:219], v2 offset:8320                    // 00000000374C: D9FE2080 D8000002
	v_mfma_i32_16x16x32_i8 v[144:147], a[40:41], v[192:193], v[144:147]// 000000003754: D3D70090 0E438128
	v_mfma_i32_16x16x32_i8 v[144:147], a[42:43], v[194:195], v[144:147]// 00000000375C: D3D70090 0E43852A
	buffer_load_dwordx4 a[148:151], v36, s[24:27], 0 offen offset:1024// 000000003764: E05C1400 80869424
	v_mfma_i32_16x16x32_i8 v[144:147], a[44:45], v[196:197], v[144:147]// 00000000376C: D3D70090 0E43892C
	v_mfma_i32_16x16x32_i8 v[144:147], a[46:47], v[198:199], v[144:147]// 000000003774: D3D70090 0E438D2E
	ds_read_b128 v[220:223], v2 offset:8384                    // 00000000377C: D9FE20C0 DC000002
	v_mfma_i32_16x16x32_i8 v[148:151], a[32:33], v[200:201], v[148:151]// 000000003784: D3D70094 0E539120
	v_mfma_i32_16x16x32_i8 v[148:151], a[34:35], v[202:203], v[148:151]// 00000000378C: D3D70094 0E539522
	buffer_load_dwordx4 a[152:155], v36, s[24:27], 0 offen offset:2048// 000000003794: E05C1800 80869824
	v_mfma_i32_16x16x32_i8 v[148:151], a[36:37], v[204:205], v[148:151]// 00000000379C: D3D70094 0E539924
	v_mfma_i32_16x16x32_i8 v[148:151], a[38:39], v[206:207], v[148:151]// 0000000037A4: D3D70094 0E539D26
	ds_read_b128 v[224:227], v2 offset:8448                    // 0000000037AC: D9FE2100 E0000002
	v_mfma_i32_16x16x32_i8 v[148:151], a[40:41], v[208:209], v[148:151]// 0000000037B4: D3D70094 0E53A128
	v_mfma_i32_16x16x32_i8 v[148:151], a[42:43], v[210:211], v[148:151]// 0000000037BC: D3D70094 0E53A52A
	buffer_load_dwordx4 a[156:159], v36, s[24:27], 0 offen offset:3072// 0000000037C4: E05C1C00 80869C24
	v_mfma_i32_16x16x32_i8 v[148:151], a[44:45], v[212:213], v[148:151]// 0000000037CC: D3D70094 0E53A92C
	v_mfma_i32_16x16x32_i8 v[148:151], a[46:47], v[214:215], v[148:151]// 0000000037D4: D3D70094 0E53AD2E
	ds_read_b128 v[228:231], v2 offset:8512                    // 0000000037DC: D9FE2140 E4000002
	s_waitcnt vmcnt(32)                                        // 0000000037E4: BF8C8F70
	v_mfma_i32_16x16x32_i8 v[152:155], a[48:49], v[184:185], v[152:155]// 0000000037E8: D3D70098 0E637130
	v_mfma_i32_16x16x32_i8 v[152:155], a[50:51], v[186:187], v[152:155]// 0000000037F0: D3D70098 0E637532
	buffer_load_dwordx4 a[160:163], v37, s[24:27], 0 offen     // 0000000037F8: E05C1000 8086A025
	v_mfma_i32_16x16x32_i8 v[152:155], a[52:53], v[188:189], v[152:155]// 000000003800: D3D70098 0E637934
	v_mfma_i32_16x16x32_i8 v[152:155], a[54:55], v[190:191], v[152:155]// 000000003808: D3D70098 0E637D36
	ds_read_b128 v[232:235], v2 offset:9344                    // 000000003810: D9FE2480 E8000002
	v_mfma_i32_16x16x32_i8 v[152:155], a[56:57], v[192:193], v[152:155]// 000000003818: D3D70098 0E638138
	v_mfma_i32_16x16x32_i8 v[152:155], a[58:59], v[194:195], v[152:155]// 000000003820: D3D70098 0E63853A
	buffer_load_dwordx4 a[164:167], v37, s[24:27], 0 offen offset:1024// 000000003828: E05C1400 8086A425
	v_mfma_i32_16x16x32_i8 v[152:155], a[60:61], v[196:197], v[152:155]// 000000003830: D3D70098 0E63893C
	v_mfma_i32_16x16x32_i8 v[152:155], a[62:63], v[198:199], v[152:155]// 000000003838: D3D70098 0E638D3E
	ds_read_b128 v[236:239], v2 offset:9408                    // 000000003840: D9FE24C0 EC000002
	v_mfma_i32_16x16x32_i8 v[156:159], a[48:49], v[200:201], v[156:159]// 000000003848: D3D7009C 0E739130
	v_mfma_i32_16x16x32_i8 v[156:159], a[50:51], v[202:203], v[156:159]// 000000003850: D3D7009C 0E739532
	buffer_load_dwordx4 a[168:171], v37, s[24:27], 0 offen offset:2048// 000000003858: E05C1800 8086A825
	v_mfma_i32_16x16x32_i8 v[156:159], a[52:53], v[204:205], v[156:159]// 000000003860: D3D7009C 0E739934
	v_mfma_i32_16x16x32_i8 v[156:159], a[54:55], v[206:207], v[156:159]// 000000003868: D3D7009C 0E739D36
	ds_read_b128 v[240:243], v2 offset:9472                    // 000000003870: D9FE2500 F0000002
	v_mfma_i32_16x16x32_i8 v[156:159], a[56:57], v[208:209], v[156:159]// 000000003878: D3D7009C 0E73A138
	v_mfma_i32_16x16x32_i8 v[156:159], a[58:59], v[210:211], v[156:159]// 000000003880: D3D7009C 0E73A53A
	buffer_load_dwordx4 a[172:175], v37, s[24:27], 0 offen offset:3072// 000000003888: E05C1C00 8086AC25
	v_mfma_i32_16x16x32_i8 v[156:159], a[60:61], v[212:213], v[156:159]// 000000003890: D3D7009C 0E73A93C
	v_mfma_i32_16x16x32_i8 v[156:159], a[62:63], v[214:215], v[156:159]// 000000003898: D3D7009C 0E73AD3E
	ds_read_b128 v[244:247], v2 offset:9536                    // 0000000038A0: D9FE2540 F4000002
	s_waitcnt vmcnt(32)                                        // 0000000038A8: BF8C8F70
	v_mfma_i32_16x16x32_i8 v[160:163], a[64:65], v[184:185], v[160:163]// 0000000038AC: D3D700A0 0E837140
	v_mfma_i32_16x16x32_i8 v[160:163], a[66:67], v[186:187], v[160:163]// 0000000038B4: D3D700A0 0E837542
	buffer_load_dwordx4 a[176:179], v38, s[24:27], 0 offen     // 0000000038BC: E05C1000 8086B026
	v_mfma_i32_16x16x32_i8 v[160:163], a[68:69], v[188:189], v[160:163]// 0000000038C4: D3D700A0 0E837944
	v_mfma_i32_16x16x32_i8 v[160:163], a[70:71], v[190:191], v[160:163]// 0000000038CC: D3D700A0 0E837D46
	v_mfma_i32_16x16x32_i8 v[160:163], a[72:73], v[192:193], v[160:163]// 0000000038D4: D3D700A0 0E838148
	v_mfma_i32_16x16x32_i8 v[160:163], a[74:75], v[194:195], v[160:163]// 0000000038DC: D3D700A0 0E83854A
	buffer_load_dwordx4 a[180:183], v38, s[24:27], 0 offen offset:1024// 0000000038E4: E05C1400 8086B426
	v_mfma_i32_16x16x32_i8 v[160:163], a[76:77], v[196:197], v[160:163]// 0000000038EC: D3D700A0 0E83894C
	v_mfma_i32_16x16x32_i8 v[160:163], a[78:79], v[198:199], v[160:163]// 0000000038F4: D3D700A0 0E838D4E
	v_mfma_i32_16x16x32_i8 v[164:167], a[64:65], v[200:201], v[164:167]// 0000000038FC: D3D700A4 0E939140
	v_mfma_i32_16x16x32_i8 v[164:167], a[66:67], v[202:203], v[164:167]// 000000003904: D3D700A4 0E939542
	buffer_load_dwordx4 a[184:187], v38, s[24:27], 0 offen offset:2048// 00000000390C: E05C1800 8086B826
	v_mfma_i32_16x16x32_i8 v[164:167], a[68:69], v[204:205], v[164:167]// 000000003914: D3D700A4 0E939944
	v_mfma_i32_16x16x32_i8 v[164:167], a[70:71], v[206:207], v[164:167]// 00000000391C: D3D700A4 0E939D46
	v_mfma_i32_16x16x32_i8 v[164:167], a[72:73], v[208:209], v[164:167]// 000000003924: D3D700A4 0E93A148
	v_mfma_i32_16x16x32_i8 v[164:167], a[74:75], v[210:211], v[164:167]// 00000000392C: D3D700A4 0E93A54A
	buffer_load_dwordx4 a[188:191], v38, s[24:27], 0 offen offset:3072// 000000003934: E05C1C00 8086BC26
	v_mfma_i32_16x16x32_i8 v[164:167], a[76:77], v[212:213], v[164:167]// 00000000393C: D3D700A4 0E93A94C
	v_mfma_i32_16x16x32_i8 v[164:167], a[78:79], v[214:215], v[164:167]// 000000003944: D3D700A4 0E93AD4E
	s_waitcnt vmcnt(32)                                        // 00000000394C: BF8C8F70
	v_mfma_i32_16x16x32_i8 v[168:171], a[80:81], v[184:185], v[168:171]// 000000003950: D3D700A8 0EA37150
	v_mfma_i32_16x16x32_i8 v[168:171], a[82:83], v[186:187], v[168:171]// 000000003958: D3D700A8 0EA37552
	buffer_load_dwordx4 a[192:195], v39, s[24:27], 0 offen     // 000000003960: E05C1000 8086C027
	v_mfma_i32_16x16x32_i8 v[168:171], a[84:85], v[188:189], v[168:171]// 000000003968: D3D700A8 0EA37954
	v_mfma_i32_16x16x32_i8 v[168:171], a[86:87], v[190:191], v[168:171]// 000000003970: D3D700A8 0EA37D56
	v_mfma_i32_16x16x32_i8 v[168:171], a[88:89], v[192:193], v[168:171]// 000000003978: D3D700A8 0EA38158
	v_mfma_i32_16x16x32_i8 v[168:171], a[90:91], v[194:195], v[168:171]// 000000003980: D3D700A8 0EA3855A
	buffer_load_dwordx4 a[196:199], v39, s[24:27], 0 offen offset:1024// 000000003988: E05C1400 8086C427
	v_mfma_i32_16x16x32_i8 v[168:171], a[92:93], v[196:197], v[168:171]// 000000003990: D3D700A8 0EA3895C
	v_mfma_i32_16x16x32_i8 v[168:171], a[94:95], v[198:199], v[168:171]// 000000003998: D3D700A8 0EA38D5E
	v_mfma_i32_16x16x32_i8 v[172:175], a[80:81], v[200:201], v[172:175]// 0000000039A0: D3D700AC 0EB39150
	v_mfma_i32_16x16x32_i8 v[172:175], a[82:83], v[202:203], v[172:175]// 0000000039A8: D3D700AC 0EB39552
	buffer_load_dwordx4 a[200:203], v39, s[24:27], 0 offen offset:2048// 0000000039B0: E05C1800 8086C827
	v_mfma_i32_16x16x32_i8 v[172:175], a[84:85], v[204:205], v[172:175]// 0000000039B8: D3D700AC 0EB39954
	v_mfma_i32_16x16x32_i8 v[172:175], a[86:87], v[206:207], v[172:175]// 0000000039C0: D3D700AC 0EB39D56
	v_mfma_i32_16x16x32_i8 v[172:175], a[88:89], v[208:209], v[172:175]// 0000000039C8: D3D700AC 0EB3A158
	v_mfma_i32_16x16x32_i8 v[172:175], a[90:91], v[210:211], v[172:175]// 0000000039D0: D3D700AC 0EB3A55A
	buffer_load_dwordx4 a[204:207], v39, s[24:27], 0 offen offset:3072// 0000000039D8: E05C1C00 8086CC27
	v_mfma_i32_16x16x32_i8 v[172:175], a[92:93], v[212:213], v[172:175]// 0000000039E0: D3D700AC 0EB3A95C
	v_mfma_i32_16x16x32_i8 v[172:175], a[94:95], v[214:215], v[172:175]// 0000000039E8: D3D700AC 0EB3AD5E
	s_waitcnt vmcnt(32)                                        // 0000000039F0: BF8C8F70
	v_mfma_i32_16x16x32_i8 v[176:179], a[96:97], v[184:185], v[176:179]// 0000000039F4: D3D700B0 0EC37160
	v_mfma_i32_16x16x32_i8 v[176:179], a[98:99], v[186:187], v[176:179]// 0000000039FC: D3D700B0 0EC37562
	buffer_load_dwordx4 a[208:211], v40, s[24:27], 0 offen     // 000000003A04: E05C1000 8086D028
	v_mfma_i32_16x16x32_i8 v[176:179], a[100:101], v[188:189], v[176:179]// 000000003A0C: D3D700B0 0EC37964
	v_mfma_i32_16x16x32_i8 v[176:179], a[102:103], v[190:191], v[176:179]// 000000003A14: D3D700B0 0EC37D66
	v_mfma_i32_16x16x32_i8 v[176:179], a[104:105], v[192:193], v[176:179]// 000000003A1C: D3D700B0 0EC38168
	v_mfma_i32_16x16x32_i8 v[176:179], a[106:107], v[194:195], v[176:179]// 000000003A24: D3D700B0 0EC3856A
	buffer_load_dwordx4 a[212:215], v40, s[24:27], 0 offen offset:1024// 000000003A2C: E05C1400 8086D428
	v_mfma_i32_16x16x32_i8 v[176:179], a[108:109], v[196:197], v[176:179]// 000000003A34: D3D700B0 0EC3896C
	v_mfma_i32_16x16x32_i8 v[176:179], a[110:111], v[198:199], v[176:179]// 000000003A3C: D3D700B0 0EC38D6E
	v_mfma_i32_16x16x32_i8 v[180:183], a[96:97], v[200:201], v[180:183]// 000000003A44: D3D700B4 0ED39160
	v_mfma_i32_16x16x32_i8 v[180:183], a[98:99], v[202:203], v[180:183]// 000000003A4C: D3D700B4 0ED39562
	buffer_load_dwordx4 a[216:219], v40, s[24:27], 0 offen offset:2048// 000000003A54: E05C1800 8086D828
	v_mfma_i32_16x16x32_i8 v[180:183], a[100:101], v[204:205], v[180:183]// 000000003A5C: D3D700B4 0ED39964
	v_mfma_i32_16x16x32_i8 v[180:183], a[102:103], v[206:207], v[180:183]// 000000003A64: D3D700B4 0ED39D66
	v_mfma_i32_16x16x32_i8 v[180:183], a[104:105], v[208:209], v[180:183]// 000000003A6C: D3D700B4 0ED3A168
	v_mfma_i32_16x16x32_i8 v[180:183], a[106:107], v[210:211], v[180:183]// 000000003A74: D3D700B4 0ED3A56A
	buffer_load_dwordx4 a[220:223], v40, s[24:27], 0 offen offset:3072// 000000003A7C: E05C1C00 8086DC28
	v_mfma_i32_16x16x32_i8 v[180:183], a[108:109], v[212:213], v[180:183]// 000000003A84: D3D700B4 0ED3A96C
	v_mfma_i32_16x16x32_i8 v[180:183], a[110:111], v[214:215], v[180:183]// 000000003A8C: D3D700B4 0ED3AD6E
	s_add_u32 s60, 0x300, s80                                  // 000000003A94: 803C50FF 00000300
	s_cmp_lt_u32 s60, s81                                      // 000000003A9C: BF0A513C
	s_cselect_b32 s57, s57, 0                                  // 000000003AA0: 85398039
	s_add_u32 s60, 0x200, s80                                  // 000000003AA4: 803C50FF 00000200
	s_cmp_lt_u32 s60, s81                                      // 000000003AAC: BF0A513C
	s_cselect_b32 s58, s58, 0                                  // 000000003AB0: 853A803A
	s_add_u32 s20, s57, s20                                    // 000000003AB4: 80141439
	s_addc_u32 s21, 0, s21                                     // 000000003AB8: 82151580
	s_add_u32 s24, s58, s24                                    // 000000003ABC: 8018183A
	s_addc_u32 s25, 0, s25                                     // 000000003AC0: 82191980
	s_addk_i32 s80, 0x100                                      // 000000003AC4: B7500100
	s_cmp_lt_i32 s80, s81                                      // 000000003AC8: BF045150
	s_cbranch_scc0 label_0552                                  // 000000003ACC: BF84015E
	s_waitcnt vmcnt(20) lgkmcnt(0)                             // 000000003AD0: BF8C4074
	s_barrier                                                  // 000000003AD4: BF8A0000
	v_mfma_i32_16x16x32_i8 v[128:131], a[112:113], v[216:217], v[128:131]// 000000003AD8: D3D70080 0E03B170
	v_mfma_i32_16x16x32_i8 v[128:131], a[114:115], v[218:219], v[128:131]// 000000003AE0: D3D70080 0E03B572
	buffer_load_dwordx4 a[0:3], v34, s[24:27], 0 offen         // 000000003AE8: E05C1000 80860022
	v_mfma_i32_16x16x32_i8 v[128:131], a[116:117], v[220:221], v[128:131]// 000000003AF0: D3D70080 0E03B974
	v_mfma_i32_16x16x32_i8 v[128:131], a[118:119], v[222:223], v[128:131]// 000000003AF8: D3D70080 0E03BD76
	buffer_load_dword v26, s[20:23], 0 offen lds               // 000000003B00: E0511000 8005001A
	s_add_u32 m0, 0x100, s51                                   // 000000003B08: 807C33FF 00000100
	v_mfma_i32_16x16x32_i8 v[128:131], a[120:121], v[224:225], v[128:131]// 000000003B10: D3D70080 0E03C178
	v_mfma_i32_16x16x32_i8 v[128:131], a[122:123], v[226:227], v[128:131]// 000000003B18: D3D70080 0E03C57A
	buffer_load_dwordx4 a[4:7], v34, s[24:27], 0 offen offset:1024// 000000003B20: E05C1400 80860422
	v_mfma_i32_16x16x32_i8 v[128:131], a[124:125], v[228:229], v[128:131]// 000000003B28: D3D70080 0E03C97C
	v_mfma_i32_16x16x32_i8 v[128:131], a[126:127], v[230:231], v[128:131]// 000000003B30: D3D70080 0E03CD7E
	buffer_load_dword v27, s[20:23], 0 offen lds               // 000000003B38: E0511000 8005001B
	s_add_u32 m0, 0x200, s51                                   // 000000003B40: 807C33FF 00000200
	v_mfma_i32_16x16x32_i8 v[132:135], a[112:113], v[232:233], v[132:135]// 000000003B48: D3D70084 0E13D170
	v_mfma_i32_16x16x32_i8 v[132:135], a[114:115], v[234:235], v[132:135]// 000000003B50: D3D70084 0E13D572
	buffer_load_dwordx4 a[8:11], v34, s[24:27], 0 offen offset:2048// 000000003B58: E05C1800 80860822
	v_mfma_i32_16x16x32_i8 v[132:135], a[116:117], v[236:237], v[132:135]// 000000003B60: D3D70084 0E13D974
	v_mfma_i32_16x16x32_i8 v[132:135], a[118:119], v[238:239], v[132:135]// 000000003B68: D3D70084 0E13DD76
	buffer_load_dword v28, s[20:23], 0 offen lds               // 000000003B70: E0511000 8005001C
	s_add_u32 m0, 0x300, s51                                   // 000000003B78: 807C33FF 00000300
	v_mfma_i32_16x16x32_i8 v[132:135], a[120:121], v[240:241], v[132:135]// 000000003B80: D3D70084 0E13E178
	v_mfma_i32_16x16x32_i8 v[132:135], a[122:123], v[242:243], v[132:135]// 000000003B88: D3D70084 0E13E57A
	buffer_load_dwordx4 a[12:15], v34, s[24:27], 0 offen offset:3072// 000000003B90: E05C1C00 80860C22
	v_mfma_i32_16x16x32_i8 v[132:135], a[124:125], v[244:245], v[132:135]// 000000003B98: D3D70084 0E13E97C
	v_mfma_i32_16x16x32_i8 v[132:135], a[126:127], v[246:247], v[132:135]// 000000003BA0: D3D70084 0E13ED7E
	buffer_load_dword v29, s[20:23], 0 offen lds               // 000000003BA8: E0511000 8005001D
	s_add_u32 m0, 0x400, s51                                   // 000000003BB0: 807C33FF 00000400
	v_mfma_i32_16x16x32_i8 v[136:139], a[128:129], v[216:217], v[136:139]// 000000003BB8: D3D70088 0E23B180
	v_mfma_i32_16x16x32_i8 v[136:139], a[130:131], v[218:219], v[136:139]// 000000003BC0: D3D70088 0E23B582
	buffer_load_dwordx4 a[16:19], v35, s[24:27], 0 offen       // 000000003BC8: E05C1000 80861023
	v_mfma_i32_16x16x32_i8 v[136:139], a[132:133], v[220:221], v[136:139]// 000000003BD0: D3D70088 0E23B984
	v_mfma_i32_16x16x32_i8 v[136:139], a[134:135], v[222:223], v[136:139]// 000000003BD8: D3D70088 0E23BD86
	buffer_load_dword v30, s[20:23], 0 offen lds               // 000000003BE0: E0511000 8005001E
	s_add_u32 m0, 0x500, s51                                   // 000000003BE8: 807C33FF 00000500
	v_mfma_i32_16x16x32_i8 v[136:139], a[136:137], v[224:225], v[136:139]// 000000003BF0: D3D70088 0E23C188
	v_mfma_i32_16x16x32_i8 v[136:139], a[138:139], v[226:227], v[136:139]// 000000003BF8: D3D70088 0E23C58A
	buffer_load_dwordx4 a[20:23], v35, s[24:27], 0 offen offset:1024// 000000003C00: E05C1400 80861423
	v_mfma_i32_16x16x32_i8 v[136:139], a[140:141], v[228:229], v[136:139]// 000000003C08: D3D70088 0E23C98C
	v_mfma_i32_16x16x32_i8 v[136:139], a[142:143], v[230:231], v[136:139]// 000000003C10: D3D70088 0E23CD8E
	buffer_load_dword v31, s[20:23], 0 offen lds               // 000000003C18: E0511000 8005001F
	s_add_u32 m0, 0x600, s51                                   // 000000003C20: 807C33FF 00000600
	v_mfma_i32_16x16x32_i8 v[140:143], a[128:129], v[232:233], v[140:143]// 000000003C28: D3D7008C 0E33D180
	v_mfma_i32_16x16x32_i8 v[140:143], a[130:131], v[234:235], v[140:143]// 000000003C30: D3D7008C 0E33D582
	buffer_load_dwordx4 a[24:27], v35, s[24:27], 0 offen offset:2048// 000000003C38: E05C1800 80861823
	v_mfma_i32_16x16x32_i8 v[140:143], a[132:133], v[236:237], v[140:143]// 000000003C40: D3D7008C 0E33D984
	v_mfma_i32_16x16x32_i8 v[140:143], a[134:135], v[238:239], v[140:143]// 000000003C48: D3D7008C 0E33DD86
	buffer_load_dword v32, s[20:23], 0 offen lds               // 000000003C50: E0511000 80050020
	s_add_u32 m0, 0x700, s51                                   // 000000003C58: 807C33FF 00000700
	v_mfma_i32_16x16x32_i8 v[140:143], a[136:137], v[240:241], v[140:143]// 000000003C60: D3D7008C 0E33E188
	v_mfma_i32_16x16x32_i8 v[140:143], a[138:139], v[242:243], v[140:143]// 000000003C68: D3D7008C 0E33E58A
	buffer_load_dwordx4 a[28:31], v35, s[24:27], 0 offen offset:3072// 000000003C70: E05C1C00 80861C23
	v_mfma_i32_16x16x32_i8 v[140:143], a[140:141], v[244:245], v[140:143]// 000000003C78: D3D7008C 0E33E98C
	v_mfma_i32_16x16x32_i8 v[140:143], a[142:143], v[246:247], v[140:143]// 000000003C80: D3D7008C 0E33ED8E
	buffer_load_dword v33, s[20:23], 0 offen lds               // 000000003C88: E0511000 80050021
	s_add_u32 m0, 0, s50                                       // 000000003C90: 807C3280
	s_waitcnt vmcnt(32)                                        // 000000003C94: BF8C8F70
	v_mfma_i32_16x16x32_i8 v[144:147], a[144:145], v[216:217], v[144:147]// 000000003C98: D3D70090 0E43B190
	v_mfma_i32_16x16x32_i8 v[144:147], a[146:147], v[218:219], v[144:147]// 000000003CA0: D3D70090 0E43B592
	buffer_load_dwordx4 a[32:35], v36, s[24:27], 0 offen       // 000000003CA8: E05C1000 80862024
	v_mfma_i32_16x16x32_i8 v[144:147], a[148:149], v[220:221], v[144:147]// 000000003CB0: D3D70090 0E43B994
	v_mfma_i32_16x16x32_i8 v[144:147], a[150:151], v[222:223], v[144:147]// 000000003CB8: D3D70090 0E43BD96
	ds_read_b128 v[184:187], v2                                // 000000003CC0: D9FE0000 B8000002
	v_mfma_i32_16x16x32_i8 v[144:147], a[152:153], v[224:225], v[144:147]// 000000003CC8: D3D70090 0E43C198
	v_mfma_i32_16x16x32_i8 v[144:147], a[154:155], v[226:227], v[144:147]// 000000003CD0: D3D70090 0E43C59A
	buffer_load_dwordx4 a[36:39], v36, s[24:27], 0 offen offset:1024// 000000003CD8: E05C1400 80862424
	v_mfma_i32_16x16x32_i8 v[144:147], a[156:157], v[228:229], v[144:147]// 000000003CE0: D3D70090 0E43C99C
	v_mfma_i32_16x16x32_i8 v[144:147], a[158:159], v[230:231], v[144:147]// 000000003CE8: D3D70090 0E43CD9E
	ds_read_b128 v[188:191], v2 offset:64                      // 000000003CF0: D9FE0040 BC000002
	v_mfma_i32_16x16x32_i8 v[148:151], a[144:145], v[232:233], v[148:151]// 000000003CF8: D3D70094 0E53D190
	v_mfma_i32_16x16x32_i8 v[148:151], a[146:147], v[234:235], v[148:151]// 000000003D00: D3D70094 0E53D592
	buffer_load_dwordx4 a[40:43], v36, s[24:27], 0 offen offset:2048// 000000003D08: E05C1800 80862824
	v_mfma_i32_16x16x32_i8 v[148:151], a[148:149], v[236:237], v[148:151]// 000000003D10: D3D70094 0E53D994
	v_mfma_i32_16x16x32_i8 v[148:151], a[150:151], v[238:239], v[148:151]// 000000003D18: D3D70094 0E53DD96
	ds_read_b128 v[192:195], v2 offset:128                     // 000000003D20: D9FE0080 C0000002
	v_mfma_i32_16x16x32_i8 v[148:151], a[152:153], v[240:241], v[148:151]// 000000003D28: D3D70094 0E53E198
	v_mfma_i32_16x16x32_i8 v[148:151], a[154:155], v[242:243], v[148:151]// 000000003D30: D3D70094 0E53E59A
	buffer_load_dwordx4 a[44:47], v36, s[24:27], 0 offen offset:3072// 000000003D38: E05C1C00 80862C24
	v_mfma_i32_16x16x32_i8 v[148:151], a[156:157], v[244:245], v[148:151]// 000000003D40: D3D70094 0E53E99C
	v_mfma_i32_16x16x32_i8 v[148:151], a[158:159], v[246:247], v[148:151]// 000000003D48: D3D70094 0E53ED9E
	ds_read_b128 v[196:199], v2 offset:192                     // 000000003D50: D9FE00C0 C4000002
	s_waitcnt vmcnt(32)                                        // 000000003D58: BF8C8F70
	v_mfma_i32_16x16x32_i8 v[152:155], a[160:161], v[216:217], v[152:155]// 000000003D5C: D3D70098 0E63B1A0
	v_mfma_i32_16x16x32_i8 v[152:155], a[162:163], v[218:219], v[152:155]// 000000003D64: D3D70098 0E63B5A2
	buffer_load_dwordx4 a[48:51], v37, s[24:27], 0 offen       // 000000003D6C: E05C1000 80863025
	v_mfma_i32_16x16x32_i8 v[152:155], a[164:165], v[220:221], v[152:155]// 000000003D74: D3D70098 0E63B9A4
	v_mfma_i32_16x16x32_i8 v[152:155], a[166:167], v[222:223], v[152:155]// 000000003D7C: D3D70098 0E63BDA6
	ds_read_b128 v[200:203], v2 offset:1024                    // 000000003D84: D9FE0400 C8000002
	v_mfma_i32_16x16x32_i8 v[152:155], a[168:169], v[224:225], v[152:155]// 000000003D8C: D3D70098 0E63C1A8
	v_mfma_i32_16x16x32_i8 v[152:155], a[170:171], v[226:227], v[152:155]// 000000003D94: D3D70098 0E63C5AA
	buffer_load_dwordx4 a[52:55], v37, s[24:27], 0 offen offset:1024// 000000003D9C: E05C1400 80863425
	v_mfma_i32_16x16x32_i8 v[152:155], a[172:173], v[228:229], v[152:155]// 000000003DA4: D3D70098 0E63C9AC
	v_mfma_i32_16x16x32_i8 v[152:155], a[174:175], v[230:231], v[152:155]// 000000003DAC: D3D70098 0E63CDAE
	ds_read_b128 v[204:207], v2 offset:1088                    // 000000003DB4: D9FE0440 CC000002
	v_mfma_i32_16x16x32_i8 v[156:159], a[160:161], v[232:233], v[156:159]// 000000003DBC: D3D7009C 0E73D1A0
	v_mfma_i32_16x16x32_i8 v[156:159], a[162:163], v[234:235], v[156:159]// 000000003DC4: D3D7009C 0E73D5A2
	buffer_load_dwordx4 a[56:59], v37, s[24:27], 0 offen offset:2048// 000000003DCC: E05C1800 80863825
	v_mfma_i32_16x16x32_i8 v[156:159], a[164:165], v[236:237], v[156:159]// 000000003DD4: D3D7009C 0E73D9A4
	v_mfma_i32_16x16x32_i8 v[156:159], a[166:167], v[238:239], v[156:159]// 000000003DDC: D3D7009C 0E73DDA6
	ds_read_b128 v[208:211], v2 offset:1152                    // 000000003DE4: D9FE0480 D0000002
	v_mfma_i32_16x16x32_i8 v[156:159], a[168:169], v[240:241], v[156:159]// 000000003DEC: D3D7009C 0E73E1A8
	v_mfma_i32_16x16x32_i8 v[156:159], a[170:171], v[242:243], v[156:159]// 000000003DF4: D3D7009C 0E73E5AA
	buffer_load_dwordx4 a[60:63], v37, s[24:27], 0 offen offset:3072// 000000003DFC: E05C1C00 80863C25
	v_mfma_i32_16x16x32_i8 v[156:159], a[172:173], v[244:245], v[156:159]// 000000003E04: D3D7009C 0E73E9AC
	v_mfma_i32_16x16x32_i8 v[156:159], a[174:175], v[246:247], v[156:159]// 000000003E0C: D3D7009C 0E73EDAE
	ds_read_b128 v[212:215], v2 offset:1216                    // 000000003E14: D9FE04C0 D4000002
	s_waitcnt vmcnt(32)                                        // 000000003E1C: BF8C8F70
	v_mfma_i32_16x16x32_i8 v[160:163], a[176:177], v[216:217], v[160:163]// 000000003E20: D3D700A0 0E83B1B0
	v_mfma_i32_16x16x32_i8 v[160:163], a[178:179], v[218:219], v[160:163]// 000000003E28: D3D700A0 0E83B5B2
	buffer_load_dwordx4 a[64:67], v38, s[24:27], 0 offen       // 000000003E30: E05C1000 80864026
	v_mfma_i32_16x16x32_i8 v[160:163], a[180:181], v[220:221], v[160:163]// 000000003E38: D3D700A0 0E83B9B4
	v_mfma_i32_16x16x32_i8 v[160:163], a[182:183], v[222:223], v[160:163]// 000000003E40: D3D700A0 0E83BDB6
	v_mfma_i32_16x16x32_i8 v[160:163], a[184:185], v[224:225], v[160:163]// 000000003E48: D3D700A0 0E83C1B8
	v_mfma_i32_16x16x32_i8 v[160:163], a[186:187], v[226:227], v[160:163]// 000000003E50: D3D700A0 0E83C5BA
	buffer_load_dwordx4 a[68:71], v38, s[24:27], 0 offen offset:1024// 000000003E58: E05C1400 80864426
	v_mfma_i32_16x16x32_i8 v[160:163], a[188:189], v[228:229], v[160:163]// 000000003E60: D3D700A0 0E83C9BC
	v_mfma_i32_16x16x32_i8 v[160:163], a[190:191], v[230:231], v[160:163]// 000000003E68: D3D700A0 0E83CDBE
	v_mfma_i32_16x16x32_i8 v[164:167], a[176:177], v[232:233], v[164:167]// 000000003E70: D3D700A4 0E93D1B0
	v_mfma_i32_16x16x32_i8 v[164:167], a[178:179], v[234:235], v[164:167]// 000000003E78: D3D700A4 0E93D5B2
	buffer_load_dwordx4 a[72:75], v38, s[24:27], 0 offen offset:2048// 000000003E80: E05C1800 80864826
	v_mfma_i32_16x16x32_i8 v[164:167], a[180:181], v[236:237], v[164:167]// 000000003E88: D3D700A4 0E93D9B4
	v_mfma_i32_16x16x32_i8 v[164:167], a[182:183], v[238:239], v[164:167]// 000000003E90: D3D700A4 0E93DDB6
	v_mfma_i32_16x16x32_i8 v[164:167], a[184:185], v[240:241], v[164:167]// 000000003E98: D3D700A4 0E93E1B8
	v_mfma_i32_16x16x32_i8 v[164:167], a[186:187], v[242:243], v[164:167]// 000000003EA0: D3D700A4 0E93E5BA
	buffer_load_dwordx4 a[76:79], v38, s[24:27], 0 offen offset:3072// 000000003EA8: E05C1C00 80864C26
	v_mfma_i32_16x16x32_i8 v[164:167], a[188:189], v[244:245], v[164:167]// 000000003EB0: D3D700A4 0E93E9BC
	v_mfma_i32_16x16x32_i8 v[164:167], a[190:191], v[246:247], v[164:167]// 000000003EB8: D3D700A4 0E93EDBE
	s_waitcnt vmcnt(32)                                        // 000000003EC0: BF8C8F70
	v_mfma_i32_16x16x32_i8 v[168:171], a[192:193], v[216:217], v[168:171]// 000000003EC4: D3D700A8 0EA3B1C0
	v_mfma_i32_16x16x32_i8 v[168:171], a[194:195], v[218:219], v[168:171]// 000000003ECC: D3D700A8 0EA3B5C2
	buffer_load_dwordx4 a[80:83], v39, s[24:27], 0 offen       // 000000003ED4: E05C1000 80865027
	v_mfma_i32_16x16x32_i8 v[168:171], a[196:197], v[220:221], v[168:171]// 000000003EDC: D3D700A8 0EA3B9C4
	v_mfma_i32_16x16x32_i8 v[168:171], a[198:199], v[222:223], v[168:171]// 000000003EE4: D3D700A8 0EA3BDC6
	v_mfma_i32_16x16x32_i8 v[168:171], a[200:201], v[224:225], v[168:171]// 000000003EEC: D3D700A8 0EA3C1C8
	v_mfma_i32_16x16x32_i8 v[168:171], a[202:203], v[226:227], v[168:171]// 000000003EF4: D3D700A8 0EA3C5CA
	buffer_load_dwordx4 a[84:87], v39, s[24:27], 0 offen offset:1024// 000000003EFC: E05C1400 80865427
	v_mfma_i32_16x16x32_i8 v[168:171], a[204:205], v[228:229], v[168:171]// 000000003F04: D3D700A8 0EA3C9CC
	v_mfma_i32_16x16x32_i8 v[168:171], a[206:207], v[230:231], v[168:171]// 000000003F0C: D3D700A8 0EA3CDCE
	v_mfma_i32_16x16x32_i8 v[172:175], a[192:193], v[232:233], v[172:175]// 000000003F14: D3D700AC 0EB3D1C0
	v_mfma_i32_16x16x32_i8 v[172:175], a[194:195], v[234:235], v[172:175]// 000000003F1C: D3D700AC 0EB3D5C2
	buffer_load_dwordx4 a[88:91], v39, s[24:27], 0 offen offset:2048// 000000003F24: E05C1800 80865827
	v_mfma_i32_16x16x32_i8 v[172:175], a[196:197], v[236:237], v[172:175]// 000000003F2C: D3D700AC 0EB3D9C4
	v_mfma_i32_16x16x32_i8 v[172:175], a[198:199], v[238:239], v[172:175]// 000000003F34: D3D700AC 0EB3DDC6
	v_mfma_i32_16x16x32_i8 v[172:175], a[200:201], v[240:241], v[172:175]// 000000003F3C: D3D700AC 0EB3E1C8
	v_mfma_i32_16x16x32_i8 v[172:175], a[202:203], v[242:243], v[172:175]// 000000003F44: D3D700AC 0EB3E5CA
	buffer_load_dwordx4 a[92:95], v39, s[24:27], 0 offen offset:3072// 000000003F4C: E05C1C00 80865C27
	v_mfma_i32_16x16x32_i8 v[172:175], a[204:205], v[244:245], v[172:175]// 000000003F54: D3D700AC 0EB3E9CC
	v_mfma_i32_16x16x32_i8 v[172:175], a[206:207], v[246:247], v[172:175]// 000000003F5C: D3D700AC 0EB3EDCE
	s_waitcnt vmcnt(32)                                        // 000000003F64: BF8C8F70
	v_mfma_i32_16x16x32_i8 v[176:179], a[208:209], v[216:217], v[176:179]// 000000003F68: D3D700B0 0EC3B1D0
	v_mfma_i32_16x16x32_i8 v[176:179], a[210:211], v[218:219], v[176:179]// 000000003F70: D3D700B0 0EC3B5D2
	buffer_load_dwordx4 a[96:99], v40, s[24:27], 0 offen       // 000000003F78: E05C1000 80866028
	v_mfma_i32_16x16x32_i8 v[176:179], a[212:213], v[220:221], v[176:179]// 000000003F80: D3D700B0 0EC3B9D4
	v_mfma_i32_16x16x32_i8 v[176:179], a[214:215], v[222:223], v[176:179]// 000000003F88: D3D700B0 0EC3BDD6
	v_mfma_i32_16x16x32_i8 v[176:179], a[216:217], v[224:225], v[176:179]// 000000003F90: D3D700B0 0EC3C1D8
	v_mfma_i32_16x16x32_i8 v[176:179], a[218:219], v[226:227], v[176:179]// 000000003F98: D3D700B0 0EC3C5DA
	buffer_load_dwordx4 a[100:103], v40, s[24:27], 0 offen offset:1024// 000000003FA0: E05C1400 80866428
	v_mfma_i32_16x16x32_i8 v[176:179], a[220:221], v[228:229], v[176:179]// 000000003FA8: D3D700B0 0EC3C9DC
	v_mfma_i32_16x16x32_i8 v[176:179], a[222:223], v[230:231], v[176:179]// 000000003FB0: D3D700B0 0EC3CDDE
	v_mfma_i32_16x16x32_i8 v[180:183], a[208:209], v[232:233], v[180:183]// 000000003FB8: D3D700B4 0ED3D1D0
	v_mfma_i32_16x16x32_i8 v[180:183], a[210:211], v[234:235], v[180:183]// 000000003FC0: D3D700B4 0ED3D5D2
	buffer_load_dwordx4 a[104:107], v40, s[24:27], 0 offen offset:2048// 000000003FC8: E05C1800 80866828
	v_mfma_i32_16x16x32_i8 v[180:183], a[212:213], v[236:237], v[180:183]// 000000003FD0: D3D700B4 0ED3D9D4
	v_mfma_i32_16x16x32_i8 v[180:183], a[214:215], v[238:239], v[180:183]// 000000003FD8: D3D700B4 0ED3DDD6
	v_mfma_i32_16x16x32_i8 v[180:183], a[216:217], v[240:241], v[180:183]// 000000003FE0: D3D700B4 0ED3E1D8
	v_mfma_i32_16x16x32_i8 v[180:183], a[218:219], v[242:243], v[180:183]// 000000003FE8: D3D700B4 0ED3E5DA
	buffer_load_dwordx4 a[108:111], v40, s[24:27], 0 offen offset:3072// 000000003FF0: E05C1C00 80866C28
	v_mfma_i32_16x16x32_i8 v[180:183], a[220:221], v[244:245], v[180:183]// 000000003FF8: D3D700B4 0ED3E9DC
	v_mfma_i32_16x16x32_i8 v[180:183], a[222:223], v[246:247], v[180:183]// 000000004000: D3D700B4 0ED3EDDE
	s_add_u32 s60, 0x300, s80                                  // 000000004008: 803C50FF 00000300
	s_cmp_lt_u32 s60, s81                                      // 000000004010: BF0A513C
	s_cselect_b32 s57, s57, 0                                  // 000000004014: 85398039
	s_add_u32 s60, 0x200, s80                                  // 000000004018: 803C50FF 00000200
	s_cmp_lt_u32 s60, s81                                      // 000000004020: BF0A513C
	s_cselect_b32 s58, s58, 0                                  // 000000004024: 853A803A
	s_add_u32 s20, s57, s20                                    // 000000004028: 80141439
	s_addc_u32 s21, 0, s21                                     // 00000000402C: 82151580
	s_add_u32 s24, s58, s24                                    // 000000004030: 8018183A
	s_addc_u32 s25, 0, s25                                     // 000000004034: 82191980
	s_addk_i32 s80, 0x100                                      // 000000004038: B7500100
	s_cmp_lt_i32 s80, s81                                      // 00000000403C: BF045150
	s_cbranch_scc0 label_0552                                  // 000000004040: BF840001
	s_branch label_0297                                        // 000000004044: BF82FD45

0000000000004048 <label_0552>:
	s_mov_b32 s36, -1                                          // 000000004048: BEA400C1
	s_mov_b32 s37, -1                                          // 00000000404C: BEA500C1
	s_mov_b64 s[60:61], 0                                      // 000000004050: BEBC0180
	s_cmp_lt_u32 s82, s66                                      // 000000004054: BF0A4252
	s_cselect_b64 s[20:21], s[36:37], s[60:61]                 // 000000004058: 85943C24
	s_cmp_lt_u32 s83, s66                                      // 00000000405C: BF0A4253
	s_cselect_b64 s[22:23], s[36:37], s[60:61]                 // 000000004060: 85963C24
	s_cmp_lt_u32 s84, s66                                      // 000000004064: BF0A4254
	s_cselect_b64 s[24:25], s[36:37], s[60:61]                 // 000000004068: 85983C24
	s_cmp_lt_u32 s85, s66                                      // 00000000406C: BF0A4255
	s_cselect_b64 s[26:27], s[36:37], s[60:61]                 // 000000004070: 859A3C24
	s_cmp_lt_u32 s86, s66                                      // 000000004074: BF0A4256
	s_cselect_b64 s[28:29], s[36:37], s[60:61]                 // 000000004078: 859C3C24
	s_cmp_lt_u32 s87, s66                                      // 00000000407C: BF0A4257
	s_cselect_b64 s[30:31], s[36:37], s[60:61]                 // 000000004080: 859E3C24
	s_cmp_lt_u32 s88, s66                                      // 000000004084: BF0A4258
	s_cselect_b64 s[32:33], s[36:37], s[60:61]                 // 000000004088: 85A03C24
	s_cmp_lt_u32 s89, s66                                      // 00000000408C: BF0A4259
	s_cselect_b64 s[34:35], s[36:37], s[60:61]                 // 000000004090: 85A23C24
	v_cvt_f32_i32_e32 v128, v128                               // 000000004094: 7F000B80
	v_cvt_f32_i32_e32 v129, v129                               // 000000004098: 7F020B81
	v_cvt_f32_i32_e32 v130, v130                               // 00000000409C: 7F040B82
	v_cvt_f32_i32_e32 v131, v131                               // 0000000040A0: 7F060B83
	v_mul_f32_e32 v128, v14, v128                              // 0000000040A4: 0B01010E
	v_mul_f32_e32 v129, v14, v129                              // 0000000040A8: 0B03030E
	v_mul_f32_e32 v130, v14, v130                              // 0000000040AC: 0B05050E
	v_mul_f32_e32 v131, v14, v131                              // 0000000040B0: 0B07070E
	v_mul_f32_dpp v128, v16, v128 row_newbcast:0 row_mask:0xf bank_mask:0xf// 0000000040B4: 0B0100FA FF015010
	v_mul_f32_dpp v129, v16, v129 row_newbcast:1 row_mask:0xf bank_mask:0xf// 0000000040BC: 0B0302FA FF015110
	v_mul_f32_dpp v130, v16, v130 row_newbcast:2 row_mask:0xf bank_mask:0xf// 0000000040C4: 0B0504FA FF015210
	v_mul_f32_dpp v131, v16, v131 row_newbcast:3 row_mask:0xf bank_mask:0xf// 0000000040CC: 0B0706FA FF015310
	v_cvt_f32_i32_e32 v132, v132                               // 0000000040D4: 7F080B84
	v_cvt_f32_i32_e32 v133, v133                               // 0000000040D8: 7F0A0B85
	v_cvt_f32_i32_e32 v134, v134                               // 0000000040DC: 7F0C0B86
	v_cvt_f32_i32_e32 v135, v135                               // 0000000040E0: 7F0E0B87
	v_mul_f32_e32 v132, v15, v132                              // 0000000040E4: 0B09090F
	v_mul_f32_e32 v133, v15, v133                              // 0000000040E8: 0B0B0B0F
	v_mul_f32_e32 v134, v15, v134                              // 0000000040EC: 0B0D0D0F
	v_mul_f32_e32 v135, v15, v135                              // 0000000040F0: 0B0F0F0F
	v_mul_f32_dpp v132, v16, v132 row_newbcast:0 row_mask:0xf bank_mask:0xf// 0000000040F4: 0B0908FA FF015010
	v_mul_f32_dpp v133, v16, v133 row_newbcast:1 row_mask:0xf bank_mask:0xf// 0000000040FC: 0B0B0AFA FF015110
	v_mul_f32_dpp v134, v16, v134 row_newbcast:2 row_mask:0xf bank_mask:0xf// 000000004104: 0B0D0CFA FF015210
	v_mul_f32_dpp v135, v16, v135 row_newbcast:3 row_mask:0xf bank_mask:0xf// 00000000410C: 0B0F0EFA FF015310
	v_cvt_f32_i32_e32 v136, v136                               // 000000004114: 7F100B88
	v_cvt_f32_i32_e32 v137, v137                               // 000000004118: 7F120B89
	v_cvt_f32_i32_e32 v138, v138                               // 00000000411C: 7F140B8A
	v_cvt_f32_i32_e32 v139, v139                               // 000000004120: 7F160B8B
	v_mul_f32_e32 v136, v14, v136                              // 000000004124: 0B11110E
	v_mul_f32_e32 v137, v14, v137                              // 000000004128: 0B13130E
	v_mul_f32_e32 v138, v14, v138                              // 00000000412C: 0B15150E
	v_mul_f32_e32 v139, v14, v139                              // 000000004130: 0B17170E
	v_mul_f32_dpp v136, v16, v136 row_newbcast:4 row_mask:0xf bank_mask:0xf// 000000004134: 0B1110FA FF015410
	v_mul_f32_dpp v137, v16, v137 row_newbcast:5 row_mask:0xf bank_mask:0xf// 00000000413C: 0B1312FA FF015510
	v_mul_f32_dpp v138, v16, v138 row_newbcast:6 row_mask:0xf bank_mask:0xf// 000000004144: 0B1514FA FF015610
	v_mul_f32_dpp v139, v16, v139 row_newbcast:7 row_mask:0xf bank_mask:0xf// 00000000414C: 0B1716FA FF015710
	v_cvt_f32_i32_e32 v140, v140                               // 000000004154: 7F180B8C
	v_cvt_f32_i32_e32 v141, v141                               // 000000004158: 7F1A0B8D
	v_cvt_f32_i32_e32 v142, v142                               // 00000000415C: 7F1C0B8E
	v_cvt_f32_i32_e32 v143, v143                               // 000000004160: 7F1E0B8F
	v_mul_f32_e32 v140, v15, v140                              // 000000004164: 0B19190F
	v_mul_f32_e32 v141, v15, v141                              // 000000004168: 0B1B1B0F
	v_mul_f32_e32 v142, v15, v142                              // 00000000416C: 0B1D1D0F
	v_mul_f32_e32 v143, v15, v143                              // 000000004170: 0B1F1F0F
	v_mul_f32_dpp v140, v16, v140 row_newbcast:4 row_mask:0xf bank_mask:0xf// 000000004174: 0B1918FA FF015410
	v_mul_f32_dpp v141, v16, v141 row_newbcast:5 row_mask:0xf bank_mask:0xf// 00000000417C: 0B1B1AFA FF015510
	v_mul_f32_dpp v142, v16, v142 row_newbcast:6 row_mask:0xf bank_mask:0xf// 000000004184: 0B1D1CFA FF015610
	v_mul_f32_dpp v143, v16, v143 row_newbcast:7 row_mask:0xf bank_mask:0xf// 00000000418C: 0B1F1EFA FF015710
	v_cvt_f32_i32_e32 v144, v144                               // 000000004194: 7F200B90
	v_cvt_f32_i32_e32 v145, v145                               // 000000004198: 7F220B91
	v_cvt_f32_i32_e32 v146, v146                               // 00000000419C: 7F240B92
	v_cvt_f32_i32_e32 v147, v147                               // 0000000041A0: 7F260B93
	v_mul_f32_e32 v144, v14, v144                              // 0000000041A4: 0B21210E
	v_mul_f32_e32 v145, v14, v145                              // 0000000041A8: 0B23230E
	v_mul_f32_e32 v146, v14, v146                              // 0000000041AC: 0B25250E
	v_mul_f32_e32 v147, v14, v147                              // 0000000041B0: 0B27270E
	v_mul_f32_dpp v144, v16, v144 row_newbcast:8 row_mask:0xf bank_mask:0xf// 0000000041B4: 0B2120FA FF015810
	v_mul_f32_dpp v145, v16, v145 row_newbcast:9 row_mask:0xf bank_mask:0xf// 0000000041BC: 0B2322FA FF015910
	v_mul_f32_dpp v146, v16, v146 row_newbcast:10 row_mask:0xf bank_mask:0xf// 0000000041C4: 0B2524FA FF015A10
	v_mul_f32_dpp v147, v16, v147 row_newbcast:11 row_mask:0xf bank_mask:0xf// 0000000041CC: 0B2726FA FF015B10
	v_cvt_f32_i32_e32 v148, v148                               // 0000000041D4: 7F280B94
	v_cvt_f32_i32_e32 v149, v149                               // 0000000041D8: 7F2A0B95
	v_cvt_f32_i32_e32 v150, v150                               // 0000000041DC: 7F2C0B96
	v_cvt_f32_i32_e32 v151, v151                               // 0000000041E0: 7F2E0B97
	v_mul_f32_e32 v148, v15, v148                              // 0000000041E4: 0B29290F
	v_mul_f32_e32 v149, v15, v149                              // 0000000041E8: 0B2B2B0F
	v_mul_f32_e32 v150, v15, v150                              // 0000000041EC: 0B2D2D0F
	v_mul_f32_e32 v151, v15, v151                              // 0000000041F0: 0B2F2F0F
	v_mul_f32_dpp v148, v16, v148 row_newbcast:8 row_mask:0xf bank_mask:0xf// 0000000041F4: 0B2928FA FF015810
	v_mul_f32_dpp v149, v16, v149 row_newbcast:9 row_mask:0xf bank_mask:0xf// 0000000041FC: 0B2B2AFA FF015910
	v_mul_f32_dpp v150, v16, v150 row_newbcast:10 row_mask:0xf bank_mask:0xf// 000000004204: 0B2D2CFA FF015A10
	v_mul_f32_dpp v151, v16, v151 row_newbcast:11 row_mask:0xf bank_mask:0xf// 00000000420C: 0B2F2EFA FF015B10
	v_cvt_f32_i32_e32 v152, v152                               // 000000004214: 7F300B98
	v_cvt_f32_i32_e32 v153, v153                               // 000000004218: 7F320B99
	v_cvt_f32_i32_e32 v154, v154                               // 00000000421C: 7F340B9A
	v_cvt_f32_i32_e32 v155, v155                               // 000000004220: 7F360B9B
	v_mul_f32_e32 v152, v14, v152                              // 000000004224: 0B31310E
	v_mul_f32_e32 v153, v14, v153                              // 000000004228: 0B33330E
	v_mul_f32_e32 v154, v14, v154                              // 00000000422C: 0B35350E
	v_mul_f32_e32 v155, v14, v155                              // 000000004230: 0B37370E
	v_mul_f32_dpp v152, v16, v152 row_newbcast:12 row_mask:0xf bank_mask:0xf// 000000004234: 0B3130FA FF015C10
	v_mul_f32_dpp v153, v16, v153 row_newbcast:13 row_mask:0xf bank_mask:0xf// 00000000423C: 0B3332FA FF015D10
	v_mul_f32_dpp v154, v16, v154 row_newbcast:14 row_mask:0xf bank_mask:0xf// 000000004244: 0B3534FA FF015E10
	v_mul_f32_dpp v155, v16, v155 row_newbcast:15 row_mask:0xf bank_mask:0xf// 00000000424C: 0B3736FA FF015F10
	v_cvt_f32_i32_e32 v156, v156                               // 000000004254: 7F380B9C
	v_cvt_f32_i32_e32 v157, v157                               // 000000004258: 7F3A0B9D
	v_cvt_f32_i32_e32 v158, v158                               // 00000000425C: 7F3C0B9E
	v_cvt_f32_i32_e32 v159, v159                               // 000000004260: 7F3E0B9F
	v_mul_f32_e32 v156, v15, v156                              // 000000004264: 0B39390F
	v_mul_f32_e32 v157, v15, v157                              // 000000004268: 0B3B3B0F
	v_mul_f32_e32 v158, v15, v158                              // 00000000426C: 0B3D3D0F
	v_mul_f32_e32 v159, v15, v159                              // 000000004270: 0B3F3F0F
	v_mul_f32_dpp v156, v16, v156 row_newbcast:12 row_mask:0xf bank_mask:0xf// 000000004274: 0B3938FA FF015C10
	v_mul_f32_dpp v157, v16, v157 row_newbcast:13 row_mask:0xf bank_mask:0xf// 00000000427C: 0B3B3AFA FF015D10
	v_mul_f32_dpp v158, v16, v158 row_newbcast:14 row_mask:0xf bank_mask:0xf// 000000004284: 0B3D3CFA FF015E10
	v_mul_f32_dpp v159, v16, v159 row_newbcast:15 row_mask:0xf bank_mask:0xf// 00000000428C: 0B3F3EFA FF015F10
	v_cvt_f32_i32_e32 v160, v160                               // 000000004294: 7F400BA0
	v_cvt_f32_i32_e32 v161, v161                               // 000000004298: 7F420BA1
	v_cvt_f32_i32_e32 v162, v162                               // 00000000429C: 7F440BA2
	v_cvt_f32_i32_e32 v163, v163                               // 0000000042A0: 7F460BA3
	v_mul_f32_e32 v160, v14, v160                              // 0000000042A4: 0B41410E
	v_mul_f32_e32 v161, v14, v161                              // 0000000042A8: 0B43430E
	v_mul_f32_e32 v162, v14, v162                              // 0000000042AC: 0B45450E
	v_mul_f32_e32 v163, v14, v163                              // 0000000042B0: 0B47470E
	v_mul_f32_dpp v160, v17, v160 row_newbcast:0 row_mask:0xf bank_mask:0xf// 0000000042B4: 0B4140FA FF015011
	v_mul_f32_dpp v161, v17, v161 row_newbcast:1 row_mask:0xf bank_mask:0xf// 0000000042BC: 0B4342FA FF015111
	v_mul_f32_dpp v162, v17, v162 row_newbcast:2 row_mask:0xf bank_mask:0xf// 0000000042C4: 0B4544FA FF015211
	v_mul_f32_dpp v163, v17, v163 row_newbcast:3 row_mask:0xf bank_mask:0xf// 0000000042CC: 0B4746FA FF015311
	v_cvt_f32_i32_e32 v164, v164                               // 0000000042D4: 7F480BA4
	v_cvt_f32_i32_e32 v165, v165                               // 0000000042D8: 7F4A0BA5
	v_cvt_f32_i32_e32 v166, v166                               // 0000000042DC: 7F4C0BA6
	v_cvt_f32_i32_e32 v167, v167                               // 0000000042E0: 7F4E0BA7
	v_mul_f32_e32 v164, v15, v164                              // 0000000042E4: 0B49490F
	v_mul_f32_e32 v165, v15, v165                              // 0000000042E8: 0B4B4B0F
	v_mul_f32_e32 v166, v15, v166                              // 0000000042EC: 0B4D4D0F
	v_mul_f32_e32 v167, v15, v167                              // 0000000042F0: 0B4F4F0F
	v_mul_f32_dpp v164, v17, v164 row_newbcast:0 row_mask:0xf bank_mask:0xf// 0000000042F4: 0B4948FA FF015011
	v_mul_f32_dpp v165, v17, v165 row_newbcast:1 row_mask:0xf bank_mask:0xf// 0000000042FC: 0B4B4AFA FF015111
	v_mul_f32_dpp v166, v17, v166 row_newbcast:2 row_mask:0xf bank_mask:0xf// 000000004304: 0B4D4CFA FF015211
	v_mul_f32_dpp v167, v17, v167 row_newbcast:3 row_mask:0xf bank_mask:0xf// 00000000430C: 0B4F4EFA FF015311
	v_cvt_f32_i32_e32 v168, v168                               // 000000004314: 7F500BA8
	v_cvt_f32_i32_e32 v169, v169                               // 000000004318: 7F520BA9
	v_cvt_f32_i32_e32 v170, v170                               // 00000000431C: 7F540BAA
	v_cvt_f32_i32_e32 v171, v171                               // 000000004320: 7F560BAB
	v_mul_f32_e32 v168, v14, v168                              // 000000004324: 0B51510E
	v_mul_f32_e32 v169, v14, v169                              // 000000004328: 0B53530E
	v_mul_f32_e32 v170, v14, v170                              // 00000000432C: 0B55550E
	v_mul_f32_e32 v171, v14, v171                              // 000000004330: 0B57570E
	v_mul_f32_dpp v168, v17, v168 row_newbcast:4 row_mask:0xf bank_mask:0xf// 000000004334: 0B5150FA FF015411
	v_mul_f32_dpp v169, v17, v169 row_newbcast:5 row_mask:0xf bank_mask:0xf// 00000000433C: 0B5352FA FF015511
	v_mul_f32_dpp v170, v17, v170 row_newbcast:6 row_mask:0xf bank_mask:0xf// 000000004344: 0B5554FA FF015611
	v_mul_f32_dpp v171, v17, v171 row_newbcast:7 row_mask:0xf bank_mask:0xf// 00000000434C: 0B5756FA FF015711
	v_cvt_f32_i32_e32 v172, v172                               // 000000004354: 7F580BAC
	v_cvt_f32_i32_e32 v173, v173                               // 000000004358: 7F5A0BAD
	v_cvt_f32_i32_e32 v174, v174                               // 00000000435C: 7F5C0BAE
	v_cvt_f32_i32_e32 v175, v175                               // 000000004360: 7F5E0BAF
	v_mul_f32_e32 v172, v15, v172                              // 000000004364: 0B59590F
	v_mul_f32_e32 v173, v15, v173                              // 000000004368: 0B5B5B0F
	v_mul_f32_e32 v174, v15, v174                              // 00000000436C: 0B5D5D0F
	v_mul_f32_e32 v175, v15, v175                              // 000000004370: 0B5F5F0F
	v_mul_f32_dpp v172, v17, v172 row_newbcast:4 row_mask:0xf bank_mask:0xf// 000000004374: 0B5958FA FF015411
	v_mul_f32_dpp v173, v17, v173 row_newbcast:5 row_mask:0xf bank_mask:0xf// 00000000437C: 0B5B5AFA FF015511
	v_mul_f32_dpp v174, v17, v174 row_newbcast:6 row_mask:0xf bank_mask:0xf// 000000004384: 0B5D5CFA FF015611
	v_mul_f32_dpp v175, v17, v175 row_newbcast:7 row_mask:0xf bank_mask:0xf// 00000000438C: 0B5F5EFA FF015711
	v_cvt_f32_i32_e32 v176, v176                               // 000000004394: 7F600BB0
	v_cvt_f32_i32_e32 v177, v177                               // 000000004398: 7F620BB1
	v_cvt_f32_i32_e32 v178, v178                               // 00000000439C: 7F640BB2
	v_cvt_f32_i32_e32 v179, v179                               // 0000000043A0: 7F660BB3
	v_mul_f32_e32 v176, v14, v176                              // 0000000043A4: 0B61610E
	v_mul_f32_e32 v177, v14, v177                              // 0000000043A8: 0B63630E
	v_mul_f32_e32 v178, v14, v178                              // 0000000043AC: 0B65650E
	v_mul_f32_e32 v179, v14, v179                              // 0000000043B0: 0B67670E
	v_mul_f32_dpp v176, v17, v176 row_newbcast:8 row_mask:0xf bank_mask:0xf// 0000000043B4: 0B6160FA FF015811
	v_mul_f32_dpp v177, v17, v177 row_newbcast:9 row_mask:0xf bank_mask:0xf// 0000000043BC: 0B6362FA FF015911
	v_mul_f32_dpp v178, v17, v178 row_newbcast:10 row_mask:0xf bank_mask:0xf// 0000000043C4: 0B6564FA FF015A11
	v_mul_f32_dpp v179, v17, v179 row_newbcast:11 row_mask:0xf bank_mask:0xf// 0000000043CC: 0B6766FA FF015B11
	v_cvt_f32_i32_e32 v180, v180                               // 0000000043D4: 7F680BB4
	v_cvt_f32_i32_e32 v181, v181                               // 0000000043D8: 7F6A0BB5
	v_cvt_f32_i32_e32 v182, v182                               // 0000000043DC: 7F6C0BB6
	v_cvt_f32_i32_e32 v183, v183                               // 0000000043E0: 7F6E0BB7
	v_mul_f32_e32 v180, v15, v180                              // 0000000043E4: 0B69690F
	v_mul_f32_e32 v181, v15, v181                              // 0000000043E8: 0B6B6B0F
	v_mul_f32_e32 v182, v15, v182                              // 0000000043EC: 0B6D6D0F
	v_mul_f32_e32 v183, v15, v183                              // 0000000043F0: 0B6F6F0F
	v_mul_f32_dpp v180, v17, v180 row_newbcast:8 row_mask:0xf bank_mask:0xf// 0000000043F4: 0B6968FA FF015811
	v_mul_f32_dpp v181, v17, v181 row_newbcast:9 row_mask:0xf bank_mask:0xf// 0000000043FC: 0B6B6AFA FF015911
	v_mul_f32_dpp v182, v17, v182 row_newbcast:10 row_mask:0xf bank_mask:0xf// 000000004404: 0B6D6CFA FF015A11
	v_mul_f32_dpp v183, v17, v183 row_newbcast:11 row_mask:0xf bank_mask:0xf// 00000000440C: 0B6F6EFA FF015B11
	s_waitcnt vmcnt(24)                                        // 000000004414: BF8C4F78
	buffer_load_dwordx4 a[0:3], v41, s[12:15], 0 offen         // 000000004418: E05C1000 80830029
	v_mul_f32_e32 v50, v128, v128                              // 000000004420: 0A650180
	v_mul_f32_e32 v51, v129, v129                              // 000000004424: 0A670381
	v_mul_f32_e32 v52, v130, v130                              // 000000004428: 0A690582
	v_mul_f32_e32 v53, v131, v131                              // 00000000442C: 0A6B0783
	v_fma_f32 v50, v50, s77, v1                                // 000000004430: D1CB0032 04049B32
	v_fma_f32 v51, v51, s77, v1                                // 000000004438: D1CB0033 04049B33
	v_fma_f32 v52, v52, s77, v1                                // 000000004440: D1CB0034 04049B34
	v_fma_f32 v53, v53, s77, v1                                // 000000004448: D1CB0035 04049B35
	v_mul_f32_e32 v50, v50, v128                               // 000000004450: 0A650132
	v_mul_f32_e32 v51, v51, v129                               // 000000004454: 0A670333
	v_mul_f32_e32 v52, v52, v130                               // 000000004458: 0A690534
	v_mul_f32_e32 v53, v53, v131                               // 00000000445C: 0A6B0735
	v_mul_f32_e64 v50, v50, s6                                 // 000000004460: D1050032 00000D32
	v_mul_f32_e64 v51, v51, s6                                 // 000000004468: D1050033 00000D33
	v_mul_f32_e64 v52, v52, s6                                 // 000000004470: D1050034 00000D34
	v_mul_f32_e64 v53, v53, s6                                 // 000000004478: D1050035 00000D35
	v_exp_f32_e32 v50, v50                                     // 000000004480: 7E644132
	v_exp_f32_e32 v51, v51                                     // 000000004484: 7E664133
	v_exp_f32_e32 v52, v52                                     // 000000004488: 7E684134
	v_exp_f32_e32 v53, v53                                     // 00000000448C: 7E6A4135
	buffer_load_dwordx4 a[4:7], v42, s[12:15], 0 offen         // 000000004490: E05C1000 8083042A
	v_add_f32_e64 v50, v50, 1.0                                // 000000004498: D1010032 0001E532
	v_add_f32_e64 v51, v51, 1.0                                // 0000000044A0: D1010033 0001E533
	v_add_f32_e64 v52, v52, 1.0                                // 0000000044A8: D1010034 0001E534
	v_add_f32_e64 v53, v53, 1.0                                // 0000000044B0: D1010035 0001E535
	v_rcp_f32_e32 v50, v50                                     // 0000000044B8: 7E644532
	v_rcp_f32_e32 v51, v51                                     // 0000000044BC: 7E664533
	v_rcp_f32_e32 v52, v52                                     // 0000000044C0: 7E684534
	v_rcp_f32_e32 v53, v53                                     // 0000000044C4: 7E6A4535
	v_mul_f32_e32 v128, v128, v50                              // 0000000044C8: 0B006580
	v_mul_f32_e32 v129, v129, v51                              // 0000000044CC: 0B026781
	v_mul_f32_e32 v130, v130, v52                              // 0000000044D0: 0B046982
	v_mul_f32_e32 v131, v131, v53                              // 0000000044D4: 0B066B83
	buffer_load_dwordx4 a[8:11], v43, s[12:15], 0 offen        // 0000000044D8: E05C1000 8083082B
	v_mul_f32_e32 v50, v132, v132                              // 0000000044E0: 0A650984
	v_mul_f32_e32 v51, v133, v133                              // 0000000044E4: 0A670B85
	v_mul_f32_e32 v52, v134, v134                              // 0000000044E8: 0A690D86
	v_mul_f32_e32 v53, v135, v135                              // 0000000044EC: 0A6B0F87
	v_fma_f32 v50, v50, s77, v1                                // 0000000044F0: D1CB0032 04049B32
	v_fma_f32 v51, v51, s77, v1                                // 0000000044F8: D1CB0033 04049B33
	v_fma_f32 v52, v52, s77, v1                                // 000000004500: D1CB0034 04049B34
	v_fma_f32 v53, v53, s77, v1                                // 000000004508: D1CB0035 04049B35
	v_mul_f32_e32 v50, v50, v132                               // 000000004510: 0A650932
	v_mul_f32_e32 v51, v51, v133                               // 000000004514: 0A670B33
	v_mul_f32_e32 v52, v52, v134                               // 000000004518: 0A690D34
	v_mul_f32_e32 v53, v53, v135                               // 00000000451C: 0A6B0F35
	v_mul_f32_e64 v50, v50, s6                                 // 000000004520: D1050032 00000D32
	v_mul_f32_e64 v51, v51, s6                                 // 000000004528: D1050033 00000D33
	v_mul_f32_e64 v52, v52, s6                                 // 000000004530: D1050034 00000D34
	v_mul_f32_e64 v53, v53, s6                                 // 000000004538: D1050035 00000D35
	v_exp_f32_e32 v50, v50                                     // 000000004540: 7E644132
	v_exp_f32_e32 v51, v51                                     // 000000004544: 7E664133
	v_exp_f32_e32 v52, v52                                     // 000000004548: 7E684134
	v_exp_f32_e32 v53, v53                                     // 00000000454C: 7E6A4135
	buffer_load_dwordx4 a[12:15], v44, s[12:15], 0 offen       // 000000004550: E05C1000 80830C2C
	s_add_u32 s12, s78, s12                                    // 000000004558: 800C0C4E
	s_addc_u32 s13, 0, s13                                     // 00000000455C: 820D0D80
	v_add_f32_e64 v50, v50, 1.0                                // 000000004560: D1010032 0001E532
	v_add_f32_e64 v51, v51, 1.0                                // 000000004568: D1010033 0001E533
	v_add_f32_e64 v52, v52, 1.0                                // 000000004570: D1010034 0001E534
	v_add_f32_e64 v53, v53, 1.0                                // 000000004578: D1010035 0001E535
	v_rcp_f32_e32 v50, v50                                     // 000000004580: 7E644532
	v_rcp_f32_e32 v51, v51                                     // 000000004584: 7E664533
	v_rcp_f32_e32 v52, v52                                     // 000000004588: 7E684534
	v_rcp_f32_e32 v53, v53                                     // 00000000458C: 7E6A4535
	v_mul_f32_e32 v132, v132, v50                              // 000000004590: 0B086584
	v_mul_f32_e32 v133, v133, v51                              // 000000004594: 0B0A6785
	v_mul_f32_e32 v134, v134, v52                              // 000000004598: 0B0C6986
	v_mul_f32_e32 v135, v135, v53                              // 00000000459C: 0B0E6B87
	s_waitcnt vmcnt(24)                                        // 0000000045A0: BF8C4F78
	buffer_load_dwordx4 a[16:19], v41, s[12:15], 0 offen       // 0000000045A4: E05C1000 80831029
	v_mul_f32_e32 v50, v136, v136                              // 0000000045AC: 0A651188
	v_mul_f32_e32 v51, v137, v137                              // 0000000045B0: 0A671389
	v_mul_f32_e32 v52, v138, v138                              // 0000000045B4: 0A69158A
	v_mul_f32_e32 v53, v139, v139                              // 0000000045B8: 0A6B178B
	v_fma_f32 v50, v50, s77, v1                                // 0000000045BC: D1CB0032 04049B32
	v_fma_f32 v51, v51, s77, v1                                // 0000000045C4: D1CB0033 04049B33
	v_fma_f32 v52, v52, s77, v1                                // 0000000045CC: D1CB0034 04049B34
	v_fma_f32 v53, v53, s77, v1                                // 0000000045D4: D1CB0035 04049B35
	v_mul_f32_e32 v50, v50, v136                               // 0000000045DC: 0A651132
	v_mul_f32_e32 v51, v51, v137                               // 0000000045E0: 0A671333
	v_mul_f32_e32 v52, v52, v138                               // 0000000045E4: 0A691534
	v_mul_f32_e32 v53, v53, v139                               // 0000000045E8: 0A6B1735
	v_mul_f32_e64 v50, v50, s6                                 // 0000000045EC: D1050032 00000D32
	v_mul_f32_e64 v51, v51, s6                                 // 0000000045F4: D1050033 00000D33
	v_mul_f32_e64 v52, v52, s6                                 // 0000000045FC: D1050034 00000D34
	v_mul_f32_e64 v53, v53, s6                                 // 000000004604: D1050035 00000D35
	v_exp_f32_e32 v50, v50                                     // 00000000460C: 7E644132
	v_exp_f32_e32 v51, v51                                     // 000000004610: 7E664133
	v_exp_f32_e32 v52, v52                                     // 000000004614: 7E684134
	v_exp_f32_e32 v53, v53                                     // 000000004618: 7E6A4135
	buffer_load_dwordx4 a[20:23], v42, s[12:15], 0 offen       // 00000000461C: E05C1000 8083142A
	v_add_f32_e64 v50, v50, 1.0                                // 000000004624: D1010032 0001E532
	v_add_f32_e64 v51, v51, 1.0                                // 00000000462C: D1010033 0001E533
	v_add_f32_e64 v52, v52, 1.0                                // 000000004634: D1010034 0001E534
	v_add_f32_e64 v53, v53, 1.0                                // 00000000463C: D1010035 0001E535
	v_rcp_f32_e32 v50, v50                                     // 000000004644: 7E644532
	v_rcp_f32_e32 v51, v51                                     // 000000004648: 7E664533
	v_rcp_f32_e32 v52, v52                                     // 00000000464C: 7E684534
	v_rcp_f32_e32 v53, v53                                     // 000000004650: 7E6A4535
	v_mul_f32_e32 v136, v136, v50                              // 000000004654: 0B106588
	v_mul_f32_e32 v137, v137, v51                              // 000000004658: 0B126789
	v_mul_f32_e32 v138, v138, v52                              // 00000000465C: 0B14698A
	v_mul_f32_e32 v139, v139, v53                              // 000000004660: 0B166B8B
	buffer_load_dwordx4 a[24:27], v43, s[12:15], 0 offen       // 000000004664: E05C1000 8083182B
	v_mul_f32_e32 v50, v140, v140                              // 00000000466C: 0A65198C
	v_mul_f32_e32 v51, v141, v141                              // 000000004670: 0A671B8D
	v_mul_f32_e32 v52, v142, v142                              // 000000004674: 0A691D8E
	v_mul_f32_e32 v53, v143, v143                              // 000000004678: 0A6B1F8F
	v_fma_f32 v50, v50, s77, v1                                // 00000000467C: D1CB0032 04049B32
	v_fma_f32 v51, v51, s77, v1                                // 000000004684: D1CB0033 04049B33
	v_fma_f32 v52, v52, s77, v1                                // 00000000468C: D1CB0034 04049B34
	v_fma_f32 v53, v53, s77, v1                                // 000000004694: D1CB0035 04049B35
	v_mul_f32_e32 v50, v50, v140                               // 00000000469C: 0A651932
	v_mul_f32_e32 v51, v51, v141                               // 0000000046A0: 0A671B33
	v_mul_f32_e32 v52, v52, v142                               // 0000000046A4: 0A691D34
	v_mul_f32_e32 v53, v53, v143                               // 0000000046A8: 0A6B1F35
	v_mul_f32_e64 v50, v50, s6                                 // 0000000046AC: D1050032 00000D32
	v_mul_f32_e64 v51, v51, s6                                 // 0000000046B4: D1050033 00000D33
	v_mul_f32_e64 v52, v52, s6                                 // 0000000046BC: D1050034 00000D34
	v_mul_f32_e64 v53, v53, s6                                 // 0000000046C4: D1050035 00000D35
	v_exp_f32_e32 v50, v50                                     // 0000000046CC: 7E644132
	v_exp_f32_e32 v51, v51                                     // 0000000046D0: 7E664133
	v_exp_f32_e32 v52, v52                                     // 0000000046D4: 7E684134
	v_exp_f32_e32 v53, v53                                     // 0000000046D8: 7E6A4135
	buffer_load_dwordx4 a[28:31], v44, s[12:15], 0 offen       // 0000000046DC: E05C1000 80831C2C
	s_add_u32 s12, s78, s12                                    // 0000000046E4: 800C0C4E
	s_addc_u32 s13, 0, s13                                     // 0000000046E8: 820D0D80
	v_add_f32_e64 v50, v50, 1.0                                // 0000000046EC: D1010032 0001E532
	v_add_f32_e64 v51, v51, 1.0                                // 0000000046F4: D1010033 0001E533
	v_add_f32_e64 v52, v52, 1.0                                // 0000000046FC: D1010034 0001E534
	v_add_f32_e64 v53, v53, 1.0                                // 000000004704: D1010035 0001E535
	v_rcp_f32_e32 v50, v50                                     // 00000000470C: 7E644532
	v_rcp_f32_e32 v51, v51                                     // 000000004710: 7E664533
	v_rcp_f32_e32 v52, v52                                     // 000000004714: 7E684534
	v_rcp_f32_e32 v53, v53                                     // 000000004718: 7E6A4535
	v_mul_f32_e32 v140, v140, v50                              // 00000000471C: 0B18658C
	v_mul_f32_e32 v141, v141, v51                              // 000000004720: 0B1A678D
	v_mul_f32_e32 v142, v142, v52                              // 000000004724: 0B1C698E
	v_mul_f32_e32 v143, v143, v53                              // 000000004728: 0B1E6B8F
	s_waitcnt vmcnt(24)                                        // 00000000472C: BF8C4F78
	buffer_load_dwordx4 a[32:35], v41, s[12:15], 0 offen       // 000000004730: E05C1000 80832029
	v_mul_f32_e32 v50, v144, v144                              // 000000004738: 0A652190
	v_mul_f32_e32 v51, v145, v145                              // 00000000473C: 0A672391
	v_mul_f32_e32 v52, v146, v146                              // 000000004740: 0A692592
	v_mul_f32_e32 v53, v147, v147                              // 000000004744: 0A6B2793
	v_fma_f32 v50, v50, s77, v1                                // 000000004748: D1CB0032 04049B32
	v_fma_f32 v51, v51, s77, v1                                // 000000004750: D1CB0033 04049B33
	v_fma_f32 v52, v52, s77, v1                                // 000000004758: D1CB0034 04049B34
	v_fma_f32 v53, v53, s77, v1                                // 000000004760: D1CB0035 04049B35
	v_mul_f32_e32 v50, v50, v144                               // 000000004768: 0A652132
	v_mul_f32_e32 v51, v51, v145                               // 00000000476C: 0A672333
	v_mul_f32_e32 v52, v52, v146                               // 000000004770: 0A692534
	v_mul_f32_e32 v53, v53, v147                               // 000000004774: 0A6B2735
	v_mul_f32_e64 v50, v50, s6                                 // 000000004778: D1050032 00000D32
	v_mul_f32_e64 v51, v51, s6                                 // 000000004780: D1050033 00000D33
	v_mul_f32_e64 v52, v52, s6                                 // 000000004788: D1050034 00000D34
	v_mul_f32_e64 v53, v53, s6                                 // 000000004790: D1050035 00000D35
	v_exp_f32_e32 v50, v50                                     // 000000004798: 7E644132
	v_exp_f32_e32 v51, v51                                     // 00000000479C: 7E664133
	v_exp_f32_e32 v52, v52                                     // 0000000047A0: 7E684134
	v_exp_f32_e32 v53, v53                                     // 0000000047A4: 7E6A4135
	buffer_load_dwordx4 a[36:39], v42, s[12:15], 0 offen       // 0000000047A8: E05C1000 8083242A
	v_add_f32_e64 v50, v50, 1.0                                // 0000000047B0: D1010032 0001E532
	v_add_f32_e64 v51, v51, 1.0                                // 0000000047B8: D1010033 0001E533
	v_add_f32_e64 v52, v52, 1.0                                // 0000000047C0: D1010034 0001E534
	v_add_f32_e64 v53, v53, 1.0                                // 0000000047C8: D1010035 0001E535
	v_rcp_f32_e32 v50, v50                                     // 0000000047D0: 7E644532
	v_rcp_f32_e32 v51, v51                                     // 0000000047D4: 7E664533
	v_rcp_f32_e32 v52, v52                                     // 0000000047D8: 7E684534
	v_rcp_f32_e32 v53, v53                                     // 0000000047DC: 7E6A4535
	v_mul_f32_e32 v144, v144, v50                              // 0000000047E0: 0B206590
	v_mul_f32_e32 v145, v145, v51                              // 0000000047E4: 0B226791
	v_mul_f32_e32 v146, v146, v52                              // 0000000047E8: 0B246992
	v_mul_f32_e32 v147, v147, v53                              // 0000000047EC: 0B266B93
	buffer_load_dwordx4 a[40:43], v43, s[12:15], 0 offen       // 0000000047F0: E05C1000 8083282B
	v_mul_f32_e32 v50, v148, v148                              // 0000000047F8: 0A652994
	v_mul_f32_e32 v51, v149, v149                              // 0000000047FC: 0A672B95
	v_mul_f32_e32 v52, v150, v150                              // 000000004800: 0A692D96
	v_mul_f32_e32 v53, v151, v151                              // 000000004804: 0A6B2F97
	v_fma_f32 v50, v50, s77, v1                                // 000000004808: D1CB0032 04049B32
	v_fma_f32 v51, v51, s77, v1                                // 000000004810: D1CB0033 04049B33
	v_fma_f32 v52, v52, s77, v1                                // 000000004818: D1CB0034 04049B34
	v_fma_f32 v53, v53, s77, v1                                // 000000004820: D1CB0035 04049B35
	v_mul_f32_e32 v50, v50, v148                               // 000000004828: 0A652932
	v_mul_f32_e32 v51, v51, v149                               // 00000000482C: 0A672B33
	v_mul_f32_e32 v52, v52, v150                               // 000000004830: 0A692D34
	v_mul_f32_e32 v53, v53, v151                               // 000000004834: 0A6B2F35
	v_mul_f32_e64 v50, v50, s6                                 // 000000004838: D1050032 00000D32
	v_mul_f32_e64 v51, v51, s6                                 // 000000004840: D1050033 00000D33
	v_mul_f32_e64 v52, v52, s6                                 // 000000004848: D1050034 00000D34
	v_mul_f32_e64 v53, v53, s6                                 // 000000004850: D1050035 00000D35
	v_exp_f32_e32 v50, v50                                     // 000000004858: 7E644132
	v_exp_f32_e32 v51, v51                                     // 00000000485C: 7E664133
	v_exp_f32_e32 v52, v52                                     // 000000004860: 7E684134
	v_exp_f32_e32 v53, v53                                     // 000000004864: 7E6A4135
	buffer_load_dwordx4 a[44:47], v44, s[12:15], 0 offen       // 000000004868: E05C1000 80832C2C
	s_add_u32 s12, s78, s12                                    // 000000004870: 800C0C4E
	s_addc_u32 s13, 0, s13                                     // 000000004874: 820D0D80
	v_add_f32_e64 v50, v50, 1.0                                // 000000004878: D1010032 0001E532
	v_add_f32_e64 v51, v51, 1.0                                // 000000004880: D1010033 0001E533
	v_add_f32_e64 v52, v52, 1.0                                // 000000004888: D1010034 0001E534
	v_add_f32_e64 v53, v53, 1.0                                // 000000004890: D1010035 0001E535
	v_rcp_f32_e32 v50, v50                                     // 000000004898: 7E644532
	v_rcp_f32_e32 v51, v51                                     // 00000000489C: 7E664533
	v_rcp_f32_e32 v52, v52                                     // 0000000048A0: 7E684534
	v_rcp_f32_e32 v53, v53                                     // 0000000048A4: 7E6A4535
	v_mul_f32_e32 v148, v148, v50                              // 0000000048A8: 0B286594
	v_mul_f32_e32 v149, v149, v51                              // 0000000048AC: 0B2A6795
	v_mul_f32_e32 v150, v150, v52                              // 0000000048B0: 0B2C6996
	v_mul_f32_e32 v151, v151, v53                              // 0000000048B4: 0B2E6B97
	s_waitcnt vmcnt(24)                                        // 0000000048B8: BF8C4F78
	buffer_load_dwordx4 a[48:51], v41, s[12:15], 0 offen       // 0000000048BC: E05C1000 80833029
	v_mul_f32_e32 v50, v152, v152                              // 0000000048C4: 0A653198
	v_mul_f32_e32 v51, v153, v153                              // 0000000048C8: 0A673399
	v_mul_f32_e32 v52, v154, v154                              // 0000000048CC: 0A69359A
	v_mul_f32_e32 v53, v155, v155                              // 0000000048D0: 0A6B379B
	v_fma_f32 v50, v50, s77, v1                                // 0000000048D4: D1CB0032 04049B32
	v_fma_f32 v51, v51, s77, v1                                // 0000000048DC: D1CB0033 04049B33
	v_fma_f32 v52, v52, s77, v1                                // 0000000048E4: D1CB0034 04049B34
	v_fma_f32 v53, v53, s77, v1                                // 0000000048EC: D1CB0035 04049B35
	v_mul_f32_e32 v50, v50, v152                               // 0000000048F4: 0A653132
	v_mul_f32_e32 v51, v51, v153                               // 0000000048F8: 0A673333
	v_mul_f32_e32 v52, v52, v154                               // 0000000048FC: 0A693534
	v_mul_f32_e32 v53, v53, v155                               // 000000004900: 0A6B3735
	v_mul_f32_e64 v50, v50, s6                                 // 000000004904: D1050032 00000D32
	v_mul_f32_e64 v51, v51, s6                                 // 00000000490C: D1050033 00000D33
	v_mul_f32_e64 v52, v52, s6                                 // 000000004914: D1050034 00000D34
	v_mul_f32_e64 v53, v53, s6                                 // 00000000491C: D1050035 00000D35
	v_exp_f32_e32 v50, v50                                     // 000000004924: 7E644132
	v_exp_f32_e32 v51, v51                                     // 000000004928: 7E664133
	v_exp_f32_e32 v52, v52                                     // 00000000492C: 7E684134
	v_exp_f32_e32 v53, v53                                     // 000000004930: 7E6A4135
	buffer_load_dwordx4 a[52:55], v42, s[12:15], 0 offen       // 000000004934: E05C1000 8083342A
	v_add_f32_e64 v50, v50, 1.0                                // 00000000493C: D1010032 0001E532
	v_add_f32_e64 v51, v51, 1.0                                // 000000004944: D1010033 0001E533
	v_add_f32_e64 v52, v52, 1.0                                // 00000000494C: D1010034 0001E534
	v_add_f32_e64 v53, v53, 1.0                                // 000000004954: D1010035 0001E535
	v_rcp_f32_e32 v50, v50                                     // 00000000495C: 7E644532
	v_rcp_f32_e32 v51, v51                                     // 000000004960: 7E664533
	v_rcp_f32_e32 v52, v52                                     // 000000004964: 7E684534
	v_rcp_f32_e32 v53, v53                                     // 000000004968: 7E6A4535
	v_mul_f32_e32 v152, v152, v50                              // 00000000496C: 0B306598
	v_mul_f32_e32 v153, v153, v51                              // 000000004970: 0B326799
	v_mul_f32_e32 v154, v154, v52                              // 000000004974: 0B34699A
	v_mul_f32_e32 v155, v155, v53                              // 000000004978: 0B366B9B
	buffer_load_dwordx4 a[56:59], v43, s[12:15], 0 offen       // 00000000497C: E05C1000 8083382B
	v_mul_f32_e32 v50, v156, v156                              // 000000004984: 0A65399C
	v_mul_f32_e32 v51, v157, v157                              // 000000004988: 0A673B9D
	v_mul_f32_e32 v52, v158, v158                              // 00000000498C: 0A693D9E
	v_mul_f32_e32 v53, v159, v159                              // 000000004990: 0A6B3F9F
	v_fma_f32 v50, v50, s77, v1                                // 000000004994: D1CB0032 04049B32
	v_fma_f32 v51, v51, s77, v1                                // 00000000499C: D1CB0033 04049B33
	v_fma_f32 v52, v52, s77, v1                                // 0000000049A4: D1CB0034 04049B34
	v_fma_f32 v53, v53, s77, v1                                // 0000000049AC: D1CB0035 04049B35
	v_mul_f32_e32 v50, v50, v156                               // 0000000049B4: 0A653932
	v_mul_f32_e32 v51, v51, v157                               // 0000000049B8: 0A673B33
	v_mul_f32_e32 v52, v52, v158                               // 0000000049BC: 0A693D34
	v_mul_f32_e32 v53, v53, v159                               // 0000000049C0: 0A6B3F35
	v_mul_f32_e64 v50, v50, s6                                 // 0000000049C4: D1050032 00000D32
	v_mul_f32_e64 v51, v51, s6                                 // 0000000049CC: D1050033 00000D33
	v_mul_f32_e64 v52, v52, s6                                 // 0000000049D4: D1050034 00000D34
	v_mul_f32_e64 v53, v53, s6                                 // 0000000049DC: D1050035 00000D35
	v_exp_f32_e32 v50, v50                                     // 0000000049E4: 7E644132
	v_exp_f32_e32 v51, v51                                     // 0000000049E8: 7E664133
	v_exp_f32_e32 v52, v52                                     // 0000000049EC: 7E684134
	v_exp_f32_e32 v53, v53                                     // 0000000049F0: 7E6A4135
	buffer_load_dwordx4 a[60:63], v44, s[12:15], 0 offen       // 0000000049F4: E05C1000 80833C2C
	s_add_u32 s12, s78, s12                                    // 0000000049FC: 800C0C4E
	s_addc_u32 s13, 0, s13                                     // 000000004A00: 820D0D80
	v_add_f32_e64 v50, v50, 1.0                                // 000000004A04: D1010032 0001E532
	v_add_f32_e64 v51, v51, 1.0                                // 000000004A0C: D1010033 0001E533
	v_add_f32_e64 v52, v52, 1.0                                // 000000004A14: D1010034 0001E534
	v_add_f32_e64 v53, v53, 1.0                                // 000000004A1C: D1010035 0001E535
	v_rcp_f32_e32 v50, v50                                     // 000000004A24: 7E644532
	v_rcp_f32_e32 v51, v51                                     // 000000004A28: 7E664533
	v_rcp_f32_e32 v52, v52                                     // 000000004A2C: 7E684534
	v_rcp_f32_e32 v53, v53                                     // 000000004A30: 7E6A4535
	v_mul_f32_e32 v156, v156, v50                              // 000000004A34: 0B38659C
	v_mul_f32_e32 v157, v157, v51                              // 000000004A38: 0B3A679D
	v_mul_f32_e32 v158, v158, v52                              // 000000004A3C: 0B3C699E
	v_mul_f32_e32 v159, v159, v53                              // 000000004A40: 0B3E6B9F
	s_waitcnt vmcnt(24)                                        // 000000004A44: BF8C4F78
	buffer_load_dwordx4 a[64:67], v41, s[12:15], 0 offen       // 000000004A48: E05C1000 80834029
	v_mul_f32_e32 v50, v160, v160                              // 000000004A50: 0A6541A0
	v_mul_f32_e32 v51, v161, v161                              // 000000004A54: 0A6743A1
	v_mul_f32_e32 v52, v162, v162                              // 000000004A58: 0A6945A2
	v_mul_f32_e32 v53, v163, v163                              // 000000004A5C: 0A6B47A3
	v_fma_f32 v50, v50, s77, v1                                // 000000004A60: D1CB0032 04049B32
	v_fma_f32 v51, v51, s77, v1                                // 000000004A68: D1CB0033 04049B33
	v_fma_f32 v52, v52, s77, v1                                // 000000004A70: D1CB0034 04049B34
	v_fma_f32 v53, v53, s77, v1                                // 000000004A78: D1CB0035 04049B35
	v_mul_f32_e32 v50, v50, v160                               // 000000004A80: 0A654132
	v_mul_f32_e32 v51, v51, v161                               // 000000004A84: 0A674333
	v_mul_f32_e32 v52, v52, v162                               // 000000004A88: 0A694534
	v_mul_f32_e32 v53, v53, v163                               // 000000004A8C: 0A6B4735
	v_mul_f32_e64 v50, v50, s6                                 // 000000004A90: D1050032 00000D32
	v_mul_f32_e64 v51, v51, s6                                 // 000000004A98: D1050033 00000D33
	v_mul_f32_e64 v52, v52, s6                                 // 000000004AA0: D1050034 00000D34
	v_mul_f32_e64 v53, v53, s6                                 // 000000004AA8: D1050035 00000D35
	v_exp_f32_e32 v50, v50                                     // 000000004AB0: 7E644132
	v_exp_f32_e32 v51, v51                                     // 000000004AB4: 7E664133
	v_exp_f32_e32 v52, v52                                     // 000000004AB8: 7E684134
	v_exp_f32_e32 v53, v53                                     // 000000004ABC: 7E6A4135
	buffer_load_dwordx4 a[68:71], v42, s[12:15], 0 offen       // 000000004AC0: E05C1000 8083442A
	v_add_f32_e64 v50, v50, 1.0                                // 000000004AC8: D1010032 0001E532
	v_add_f32_e64 v51, v51, 1.0                                // 000000004AD0: D1010033 0001E533
	v_add_f32_e64 v52, v52, 1.0                                // 000000004AD8: D1010034 0001E534
	v_add_f32_e64 v53, v53, 1.0                                // 000000004AE0: D1010035 0001E535
	v_rcp_f32_e32 v50, v50                                     // 000000004AE8: 7E644532
	v_rcp_f32_e32 v51, v51                                     // 000000004AEC: 7E664533
	v_rcp_f32_e32 v52, v52                                     // 000000004AF0: 7E684534
	v_rcp_f32_e32 v53, v53                                     // 000000004AF4: 7E6A4535
	v_mul_f32_e32 v160, v160, v50                              // 000000004AF8: 0B4065A0
	v_mul_f32_e32 v161, v161, v51                              // 000000004AFC: 0B4267A1
	v_mul_f32_e32 v162, v162, v52                              // 000000004B00: 0B4469A2
	v_mul_f32_e32 v163, v163, v53                              // 000000004B04: 0B466BA3
	buffer_load_dwordx4 a[72:75], v43, s[12:15], 0 offen       // 000000004B08: E05C1000 8083482B
	v_mul_f32_e32 v50, v164, v164                              // 000000004B10: 0A6549A4
	v_mul_f32_e32 v51, v165, v165                              // 000000004B14: 0A674BA5
	v_mul_f32_e32 v52, v166, v166                              // 000000004B18: 0A694DA6
	v_mul_f32_e32 v53, v167, v167                              // 000000004B1C: 0A6B4FA7
	v_fma_f32 v50, v50, s77, v1                                // 000000004B20: D1CB0032 04049B32
	v_fma_f32 v51, v51, s77, v1                                // 000000004B28: D1CB0033 04049B33
	v_fma_f32 v52, v52, s77, v1                                // 000000004B30: D1CB0034 04049B34
	v_fma_f32 v53, v53, s77, v1                                // 000000004B38: D1CB0035 04049B35
	v_mul_f32_e32 v50, v50, v164                               // 000000004B40: 0A654932
	v_mul_f32_e32 v51, v51, v165                               // 000000004B44: 0A674B33
	v_mul_f32_e32 v52, v52, v166                               // 000000004B48: 0A694D34
	v_mul_f32_e32 v53, v53, v167                               // 000000004B4C: 0A6B4F35
	v_mul_f32_e64 v50, v50, s6                                 // 000000004B50: D1050032 00000D32
	v_mul_f32_e64 v51, v51, s6                                 // 000000004B58: D1050033 00000D33
	v_mul_f32_e64 v52, v52, s6                                 // 000000004B60: D1050034 00000D34
	v_mul_f32_e64 v53, v53, s6                                 // 000000004B68: D1050035 00000D35
	v_exp_f32_e32 v50, v50                                     // 000000004B70: 7E644132
	v_exp_f32_e32 v51, v51                                     // 000000004B74: 7E664133
	v_exp_f32_e32 v52, v52                                     // 000000004B78: 7E684134
	v_exp_f32_e32 v53, v53                                     // 000000004B7C: 7E6A4135
	buffer_load_dwordx4 a[76:79], v44, s[12:15], 0 offen       // 000000004B80: E05C1000 80834C2C
	s_add_u32 s12, s78, s12                                    // 000000004B88: 800C0C4E
	s_addc_u32 s13, 0, s13                                     // 000000004B8C: 820D0D80
	v_add_f32_e64 v50, v50, 1.0                                // 000000004B90: D1010032 0001E532
	v_add_f32_e64 v51, v51, 1.0                                // 000000004B98: D1010033 0001E533
	v_add_f32_e64 v52, v52, 1.0                                // 000000004BA0: D1010034 0001E534
	v_add_f32_e64 v53, v53, 1.0                                // 000000004BA8: D1010035 0001E535
	v_rcp_f32_e32 v50, v50                                     // 000000004BB0: 7E644532
	v_rcp_f32_e32 v51, v51                                     // 000000004BB4: 7E664533
	v_rcp_f32_e32 v52, v52                                     // 000000004BB8: 7E684534
	v_rcp_f32_e32 v53, v53                                     // 000000004BBC: 7E6A4535
	v_mul_f32_e32 v164, v164, v50                              // 000000004BC0: 0B4865A4
	v_mul_f32_e32 v165, v165, v51                              // 000000004BC4: 0B4A67A5
	v_mul_f32_e32 v166, v166, v52                              // 000000004BC8: 0B4C69A6
	v_mul_f32_e32 v167, v167, v53                              // 000000004BCC: 0B4E6BA7
	s_waitcnt vmcnt(24)                                        // 000000004BD0: BF8C4F78
	buffer_load_dwordx4 a[80:83], v41, s[12:15], 0 offen       // 000000004BD4: E05C1000 80835029
	v_mul_f32_e32 v50, v168, v168                              // 000000004BDC: 0A6551A8
	v_mul_f32_e32 v51, v169, v169                              // 000000004BE0: 0A6753A9
	v_mul_f32_e32 v52, v170, v170                              // 000000004BE4: 0A6955AA
	v_mul_f32_e32 v53, v171, v171                              // 000000004BE8: 0A6B57AB
	v_fma_f32 v50, v50, s77, v1                                // 000000004BEC: D1CB0032 04049B32
	v_fma_f32 v51, v51, s77, v1                                // 000000004BF4: D1CB0033 04049B33
	v_fma_f32 v52, v52, s77, v1                                // 000000004BFC: D1CB0034 04049B34
	v_fma_f32 v53, v53, s77, v1                                // 000000004C04: D1CB0035 04049B35
	v_mul_f32_e32 v50, v50, v168                               // 000000004C0C: 0A655132
	v_mul_f32_e32 v51, v51, v169                               // 000000004C10: 0A675333
	v_mul_f32_e32 v52, v52, v170                               // 000000004C14: 0A695534
	v_mul_f32_e32 v53, v53, v171                               // 000000004C18: 0A6B5735
	v_mul_f32_e64 v50, v50, s6                                 // 000000004C1C: D1050032 00000D32
	v_mul_f32_e64 v51, v51, s6                                 // 000000004C24: D1050033 00000D33
	v_mul_f32_e64 v52, v52, s6                                 // 000000004C2C: D1050034 00000D34
	v_mul_f32_e64 v53, v53, s6                                 // 000000004C34: D1050035 00000D35
	v_exp_f32_e32 v50, v50                                     // 000000004C3C: 7E644132
	v_exp_f32_e32 v51, v51                                     // 000000004C40: 7E664133
	v_exp_f32_e32 v52, v52                                     // 000000004C44: 7E684134
	v_exp_f32_e32 v53, v53                                     // 000000004C48: 7E6A4135
	buffer_load_dwordx4 a[84:87], v42, s[12:15], 0 offen       // 000000004C4C: E05C1000 8083542A
	v_add_f32_e64 v50, v50, 1.0                                // 000000004C54: D1010032 0001E532
	v_add_f32_e64 v51, v51, 1.0                                // 000000004C5C: D1010033 0001E533
	v_add_f32_e64 v52, v52, 1.0                                // 000000004C64: D1010034 0001E534
	v_add_f32_e64 v53, v53, 1.0                                // 000000004C6C: D1010035 0001E535
	v_rcp_f32_e32 v50, v50                                     // 000000004C74: 7E644532
	v_rcp_f32_e32 v51, v51                                     // 000000004C78: 7E664533
	v_rcp_f32_e32 v52, v52                                     // 000000004C7C: 7E684534
	v_rcp_f32_e32 v53, v53                                     // 000000004C80: 7E6A4535
	v_mul_f32_e32 v168, v168, v50                              // 000000004C84: 0B5065A8
	v_mul_f32_e32 v169, v169, v51                              // 000000004C88: 0B5267A9
	v_mul_f32_e32 v170, v170, v52                              // 000000004C8C: 0B5469AA
	v_mul_f32_e32 v171, v171, v53                              // 000000004C90: 0B566BAB
	buffer_load_dwordx4 a[88:91], v43, s[12:15], 0 offen       // 000000004C94: E05C1000 8083582B
	v_mul_f32_e32 v50, v172, v172                              // 000000004C9C: 0A6559AC
	v_mul_f32_e32 v51, v173, v173                              // 000000004CA0: 0A675BAD
	v_mul_f32_e32 v52, v174, v174                              // 000000004CA4: 0A695DAE
	v_mul_f32_e32 v53, v175, v175                              // 000000004CA8: 0A6B5FAF
	v_fma_f32 v50, v50, s77, v1                                // 000000004CAC: D1CB0032 04049B32
	v_fma_f32 v51, v51, s77, v1                                // 000000004CB4: D1CB0033 04049B33
	v_fma_f32 v52, v52, s77, v1                                // 000000004CBC: D1CB0034 04049B34
	v_fma_f32 v53, v53, s77, v1                                // 000000004CC4: D1CB0035 04049B35
	v_mul_f32_e32 v50, v50, v172                               // 000000004CCC: 0A655932
	v_mul_f32_e32 v51, v51, v173                               // 000000004CD0: 0A675B33
	v_mul_f32_e32 v52, v52, v174                               // 000000004CD4: 0A695D34
	v_mul_f32_e32 v53, v53, v175                               // 000000004CD8: 0A6B5F35
	v_mul_f32_e64 v50, v50, s6                                 // 000000004CDC: D1050032 00000D32
	v_mul_f32_e64 v51, v51, s6                                 // 000000004CE4: D1050033 00000D33
	v_mul_f32_e64 v52, v52, s6                                 // 000000004CEC: D1050034 00000D34
	v_mul_f32_e64 v53, v53, s6                                 // 000000004CF4: D1050035 00000D35
	v_exp_f32_e32 v50, v50                                     // 000000004CFC: 7E644132
	v_exp_f32_e32 v51, v51                                     // 000000004D00: 7E664133
	v_exp_f32_e32 v52, v52                                     // 000000004D04: 7E684134
	v_exp_f32_e32 v53, v53                                     // 000000004D08: 7E6A4135
	buffer_load_dwordx4 a[92:95], v44, s[12:15], 0 offen       // 000000004D0C: E05C1000 80835C2C
	s_add_u32 s12, s78, s12                                    // 000000004D14: 800C0C4E
	s_addc_u32 s13, 0, s13                                     // 000000004D18: 820D0D80
	v_add_f32_e64 v50, v50, 1.0                                // 000000004D1C: D1010032 0001E532
	v_add_f32_e64 v51, v51, 1.0                                // 000000004D24: D1010033 0001E533
	v_add_f32_e64 v52, v52, 1.0                                // 000000004D2C: D1010034 0001E534
	v_add_f32_e64 v53, v53, 1.0                                // 000000004D34: D1010035 0001E535
	v_rcp_f32_e32 v50, v50                                     // 000000004D3C: 7E644532
	v_rcp_f32_e32 v51, v51                                     // 000000004D40: 7E664533
	v_rcp_f32_e32 v52, v52                                     // 000000004D44: 7E684534
	v_rcp_f32_e32 v53, v53                                     // 000000004D48: 7E6A4535
	v_mul_f32_e32 v172, v172, v50                              // 000000004D4C: 0B5865AC
	v_mul_f32_e32 v173, v173, v51                              // 000000004D50: 0B5A67AD
	v_mul_f32_e32 v174, v174, v52                              // 000000004D54: 0B5C69AE
	v_mul_f32_e32 v175, v175, v53                              // 000000004D58: 0B5E6BAF
	s_waitcnt vmcnt(24)                                        // 000000004D5C: BF8C4F78
	buffer_load_dwordx4 a[96:99], v41, s[12:15], 0 offen       // 000000004D60: E05C1000 80836029
	v_mul_f32_e32 v50, v176, v176                              // 000000004D68: 0A6561B0
	v_mul_f32_e32 v51, v177, v177                              // 000000004D6C: 0A6763B1
	v_mul_f32_e32 v52, v178, v178                              // 000000004D70: 0A6965B2
	v_mul_f32_e32 v53, v179, v179                              // 000000004D74: 0A6B67B3
	v_fma_f32 v50, v50, s77, v1                                // 000000004D78: D1CB0032 04049B32
	v_fma_f32 v51, v51, s77, v1                                // 000000004D80: D1CB0033 04049B33
	v_fma_f32 v52, v52, s77, v1                                // 000000004D88: D1CB0034 04049B34
	v_fma_f32 v53, v53, s77, v1                                // 000000004D90: D1CB0035 04049B35
	v_mul_f32_e32 v50, v50, v176                               // 000000004D98: 0A656132
	v_mul_f32_e32 v51, v51, v177                               // 000000004D9C: 0A676333
	v_mul_f32_e32 v52, v52, v178                               // 000000004DA0: 0A696534
	v_mul_f32_e32 v53, v53, v179                               // 000000004DA4: 0A6B6735
	v_mul_f32_e64 v50, v50, s6                                 // 000000004DA8: D1050032 00000D32
	v_mul_f32_e64 v51, v51, s6                                 // 000000004DB0: D1050033 00000D33
	v_mul_f32_e64 v52, v52, s6                                 // 000000004DB8: D1050034 00000D34
	v_mul_f32_e64 v53, v53, s6                                 // 000000004DC0: D1050035 00000D35
	v_exp_f32_e32 v50, v50                                     // 000000004DC8: 7E644132
	v_exp_f32_e32 v51, v51                                     // 000000004DCC: 7E664133
	v_exp_f32_e32 v52, v52                                     // 000000004DD0: 7E684134
	v_exp_f32_e32 v53, v53                                     // 000000004DD4: 7E6A4135
	buffer_load_dwordx4 a[100:103], v42, s[12:15], 0 offen     // 000000004DD8: E05C1000 8083642A
	v_add_f32_e64 v50, v50, 1.0                                // 000000004DE0: D1010032 0001E532
	v_add_f32_e64 v51, v51, 1.0                                // 000000004DE8: D1010033 0001E533
	v_add_f32_e64 v52, v52, 1.0                                // 000000004DF0: D1010034 0001E534
	v_add_f32_e64 v53, v53, 1.0                                // 000000004DF8: D1010035 0001E535
	v_rcp_f32_e32 v50, v50                                     // 000000004E00: 7E644532
	v_rcp_f32_e32 v51, v51                                     // 000000004E04: 7E664533
	v_rcp_f32_e32 v52, v52                                     // 000000004E08: 7E684534
	v_rcp_f32_e32 v53, v53                                     // 000000004E0C: 7E6A4535
	v_mul_f32_e32 v176, v176, v50                              // 000000004E10: 0B6065B0
	v_mul_f32_e32 v177, v177, v51                              // 000000004E14: 0B6267B1
	v_mul_f32_e32 v178, v178, v52                              // 000000004E18: 0B6469B2
	v_mul_f32_e32 v179, v179, v53                              // 000000004E1C: 0B666BB3
	buffer_load_dwordx4 a[104:107], v43, s[12:15], 0 offen     // 000000004E20: E05C1000 8083682B
	v_mul_f32_e32 v50, v180, v180                              // 000000004E28: 0A6569B4
	v_mul_f32_e32 v51, v181, v181                              // 000000004E2C: 0A676BB5
	v_mul_f32_e32 v52, v182, v182                              // 000000004E30: 0A696DB6
	v_mul_f32_e32 v53, v183, v183                              // 000000004E34: 0A6B6FB7
	v_fma_f32 v50, v50, s77, v1                                // 000000004E38: D1CB0032 04049B32
	v_fma_f32 v51, v51, s77, v1                                // 000000004E40: D1CB0033 04049B33
	v_fma_f32 v52, v52, s77, v1                                // 000000004E48: D1CB0034 04049B34
	v_fma_f32 v53, v53, s77, v1                                // 000000004E50: D1CB0035 04049B35
	v_mul_f32_e32 v50, v50, v180                               // 000000004E58: 0A656932
	v_mul_f32_e32 v51, v51, v181                               // 000000004E5C: 0A676B33
	v_mul_f32_e32 v52, v52, v182                               // 000000004E60: 0A696D34
	v_mul_f32_e32 v53, v53, v183                               // 000000004E64: 0A6B6F35
	v_mul_f32_e64 v50, v50, s6                                 // 000000004E68: D1050032 00000D32
	v_mul_f32_e64 v51, v51, s6                                 // 000000004E70: D1050033 00000D33
	v_mul_f32_e64 v52, v52, s6                                 // 000000004E78: D1050034 00000D34
	v_mul_f32_e64 v53, v53, s6                                 // 000000004E80: D1050035 00000D35
	v_exp_f32_e32 v50, v50                                     // 000000004E88: 7E644132
	v_exp_f32_e32 v51, v51                                     // 000000004E8C: 7E664133
	v_exp_f32_e32 v52, v52                                     // 000000004E90: 7E684134
	v_exp_f32_e32 v53, v53                                     // 000000004E94: 7E6A4135
	buffer_load_dwordx4 a[108:111], v44, s[12:15], 0 offen     // 000000004E98: E05C1000 80836C2C
	v_add_f32_e64 v50, v50, 1.0                                // 000000004EA0: D1010032 0001E532
	v_add_f32_e64 v51, v51, 1.0                                // 000000004EA8: D1010033 0001E533
	v_add_f32_e64 v52, v52, 1.0                                // 000000004EB0: D1010034 0001E534
	v_add_f32_e64 v53, v53, 1.0                                // 000000004EB8: D1010035 0001E535
	v_rcp_f32_e32 v50, v50                                     // 000000004EC0: 7E644532
	v_rcp_f32_e32 v51, v51                                     // 000000004EC4: 7E664533
	v_rcp_f32_e32 v52, v52                                     // 000000004EC8: 7E684534
	v_rcp_f32_e32 v53, v53                                     // 000000004ECC: 7E6A4535
	v_mul_f32_e32 v180, v180, v50                              // 000000004ED0: 0B6865B4
	v_mul_f32_e32 v181, v181, v51                              // 000000004ED4: 0B6A67B5
	v_mul_f32_e32 v182, v182, v52                              // 000000004ED8: 0B6C69B6
	v_mul_f32_e32 v183, v183, v53                              // 000000004EDC: 0B6E6BB7
	v_mul_f32_dpp v128, v18, v128 row_newbcast:0 row_mask:0xf bank_mask:0xf// 000000004EE0: 0B0100FA FF015012
	v_mul_f32_dpp v129, v18, v129 row_newbcast:1 row_mask:0xf bank_mask:0xf// 000000004EE8: 0B0302FA FF015112
	v_mul_f32_dpp v130, v18, v130 row_newbcast:2 row_mask:0xf bank_mask:0xf// 000000004EF0: 0B0504FA FF015212
	v_mul_f32_dpp v131, v18, v131 row_newbcast:3 row_mask:0xf bank_mask:0xf// 000000004EF8: 0B0706FA FF015312
	v_mul_f32_dpp v132, v18, v132 row_newbcast:0 row_mask:0xf bank_mask:0xf// 000000004F00: 0B0908FA FF015012
	v_mul_f32_dpp v133, v18, v133 row_newbcast:1 row_mask:0xf bank_mask:0xf// 000000004F08: 0B0B0AFA FF015112
	v_mul_f32_dpp v134, v18, v134 row_newbcast:2 row_mask:0xf bank_mask:0xf// 000000004F10: 0B0D0CFA FF015212
	v_mul_f32_dpp v135, v18, v135 row_newbcast:3 row_mask:0xf bank_mask:0xf// 000000004F18: 0B0F0EFA FF015312
	v_mul_f32_dpp v136, v18, v136 row_newbcast:4 row_mask:0xf bank_mask:0xf// 000000004F20: 0B1110FA FF015412
	v_mul_f32_dpp v137, v18, v137 row_newbcast:5 row_mask:0xf bank_mask:0xf// 000000004F28: 0B1312FA FF015512
	v_mul_f32_dpp v138, v18, v138 row_newbcast:6 row_mask:0xf bank_mask:0xf// 000000004F30: 0B1514FA FF015612
	v_mul_f32_dpp v139, v18, v139 row_newbcast:7 row_mask:0xf bank_mask:0xf// 000000004F38: 0B1716FA FF015712
	v_mul_f32_dpp v140, v18, v140 row_newbcast:4 row_mask:0xf bank_mask:0xf// 000000004F40: 0B1918FA FF015412
	v_mul_f32_dpp v141, v18, v141 row_newbcast:5 row_mask:0xf bank_mask:0xf// 000000004F48: 0B1B1AFA FF015512
	v_mul_f32_dpp v142, v18, v142 row_newbcast:6 row_mask:0xf bank_mask:0xf// 000000004F50: 0B1D1CFA FF015612
	v_mul_f32_dpp v143, v18, v143 row_newbcast:7 row_mask:0xf bank_mask:0xf// 000000004F58: 0B1F1EFA FF015712
	v_mul_f32_dpp v144, v18, v144 row_newbcast:8 row_mask:0xf bank_mask:0xf// 000000004F60: 0B2120FA FF015812
	v_mul_f32_dpp v145, v18, v145 row_newbcast:9 row_mask:0xf bank_mask:0xf// 000000004F68: 0B2322FA FF015912
	v_mul_f32_dpp v146, v18, v146 row_newbcast:10 row_mask:0xf bank_mask:0xf// 000000004F70: 0B2524FA FF015A12
	v_mul_f32_dpp v147, v18, v147 row_newbcast:11 row_mask:0xf bank_mask:0xf// 000000004F78: 0B2726FA FF015B12
	v_mul_f32_dpp v148, v18, v148 row_newbcast:8 row_mask:0xf bank_mask:0xf// 000000004F80: 0B2928FA FF015812
	v_mul_f32_dpp v149, v18, v149 row_newbcast:9 row_mask:0xf bank_mask:0xf// 000000004F88: 0B2B2AFA FF015912
	v_mul_f32_dpp v150, v18, v150 row_newbcast:10 row_mask:0xf bank_mask:0xf// 000000004F90: 0B2D2CFA FF015A12
	v_mul_f32_dpp v151, v18, v151 row_newbcast:11 row_mask:0xf bank_mask:0xf// 000000004F98: 0B2F2EFA FF015B12
	v_mul_f32_dpp v152, v18, v152 row_newbcast:12 row_mask:0xf bank_mask:0xf// 000000004FA0: 0B3130FA FF015C12
	v_mul_f32_dpp v153, v18, v153 row_newbcast:13 row_mask:0xf bank_mask:0xf// 000000004FA8: 0B3332FA FF015D12
	v_mul_f32_dpp v154, v18, v154 row_newbcast:14 row_mask:0xf bank_mask:0xf// 000000004FB0: 0B3534FA FF015E12
	v_mul_f32_dpp v155, v18, v155 row_newbcast:15 row_mask:0xf bank_mask:0xf// 000000004FB8: 0B3736FA FF015F12
	v_mul_f32_dpp v156, v18, v156 row_newbcast:12 row_mask:0xf bank_mask:0xf// 000000004FC0: 0B3938FA FF015C12
	v_mul_f32_dpp v157, v18, v157 row_newbcast:13 row_mask:0xf bank_mask:0xf// 000000004FC8: 0B3B3AFA FF015D12
	v_mul_f32_dpp v158, v18, v158 row_newbcast:14 row_mask:0xf bank_mask:0xf// 000000004FD0: 0B3D3CFA FF015E12
	v_mul_f32_dpp v159, v18, v159 row_newbcast:15 row_mask:0xf bank_mask:0xf// 000000004FD8: 0B3F3EFA FF015F12
	v_mul_f32_dpp v160, v19, v160 row_newbcast:0 row_mask:0xf bank_mask:0xf// 000000004FE0: 0B4140FA FF015013
	v_mul_f32_dpp v161, v19, v161 row_newbcast:1 row_mask:0xf bank_mask:0xf// 000000004FE8: 0B4342FA FF015113
	v_mul_f32_dpp v162, v19, v162 row_newbcast:2 row_mask:0xf bank_mask:0xf// 000000004FF0: 0B4544FA FF015213
	v_mul_f32_dpp v163, v19, v163 row_newbcast:3 row_mask:0xf bank_mask:0xf// 000000004FF8: 0B4746FA FF015313
	v_mul_f32_dpp v164, v19, v164 row_newbcast:0 row_mask:0xf bank_mask:0xf// 000000005000: 0B4948FA FF015013
	v_mul_f32_dpp v165, v19, v165 row_newbcast:1 row_mask:0xf bank_mask:0xf// 000000005008: 0B4B4AFA FF015113
	v_mul_f32_dpp v166, v19, v166 row_newbcast:2 row_mask:0xf bank_mask:0xf// 000000005010: 0B4D4CFA FF015213
	v_mul_f32_dpp v167, v19, v167 row_newbcast:3 row_mask:0xf bank_mask:0xf// 000000005018: 0B4F4EFA FF015313
	v_mul_f32_dpp v168, v19, v168 row_newbcast:4 row_mask:0xf bank_mask:0xf// 000000005020: 0B5150FA FF015413
	v_mul_f32_dpp v169, v19, v169 row_newbcast:5 row_mask:0xf bank_mask:0xf// 000000005028: 0B5352FA FF015513
	v_mul_f32_dpp v170, v19, v170 row_newbcast:6 row_mask:0xf bank_mask:0xf// 000000005030: 0B5554FA FF015613
	v_mul_f32_dpp v171, v19, v171 row_newbcast:7 row_mask:0xf bank_mask:0xf// 000000005038: 0B5756FA FF015713
	v_mul_f32_dpp v172, v19, v172 row_newbcast:4 row_mask:0xf bank_mask:0xf// 000000005040: 0B5958FA FF015413
	v_mul_f32_dpp v173, v19, v173 row_newbcast:5 row_mask:0xf bank_mask:0xf// 000000005048: 0B5B5AFA FF015513
	v_mul_f32_dpp v174, v19, v174 row_newbcast:6 row_mask:0xf bank_mask:0xf// 000000005050: 0B5D5CFA FF015613
	v_mul_f32_dpp v175, v19, v175 row_newbcast:7 row_mask:0xf bank_mask:0xf// 000000005058: 0B5F5EFA FF015713
	v_mul_f32_dpp v176, v19, v176 row_newbcast:8 row_mask:0xf bank_mask:0xf// 000000005060: 0B6160FA FF015813
	v_mul_f32_dpp v177, v19, v177 row_newbcast:9 row_mask:0xf bank_mask:0xf// 000000005068: 0B6362FA FF015913
	v_mul_f32_dpp v178, v19, v178 row_newbcast:10 row_mask:0xf bank_mask:0xf// 000000005070: 0B6564FA FF015A13
	v_mul_f32_dpp v179, v19, v179 row_newbcast:11 row_mask:0xf bank_mask:0xf// 000000005078: 0B6766FA FF015B13
	v_mul_f32_dpp v180, v19, v180 row_newbcast:8 row_mask:0xf bank_mask:0xf// 000000005080: 0B6968FA FF015813
	v_mul_f32_dpp v181, v19, v181 row_newbcast:9 row_mask:0xf bank_mask:0xf// 000000005088: 0B6B6AFA FF015913
	v_mul_f32_dpp v182, v19, v182 row_newbcast:10 row_mask:0xf bank_mask:0xf// 000000005090: 0B6D6CFA FF015A13
	v_mul_f32_dpp v183, v19, v183 row_newbcast:11 row_mask:0xf bank_mask:0xf// 000000005098: 0B6F6EFA FF015B13
	buffer_load_dword v12, v5, s[16:19], 0 offen               // 0000000050A0: E0501000 80040C05
	v_mov_b32_e32 v22, 0x358637bd                              // 0000000050A8: 7E2C02FF 358637BD
	v_mov_b32_e32 v23, 0x358637bd                              // 0000000050B0: 7E2E02FF 358637BD
	v_max3_f32 v22, |v128|, |v129|, v22                        // 0000000050B8: D1D30316 045B0380
	v_max3_f32 v22, |v130|, |v131|, v22                        // 0000000050C0: D1D30316 045B0782
	v_max3_f32 v23, |v132|, |v133|, v23                        // 0000000050C8: D1D30317 045F0B84
	v_max3_f32 v23, |v134|, |v135|, v23                        // 0000000050D0: D1D30317 045F0F86
	v_max3_f32 v22, |v136|, |v137|, v22                        // 0000000050D8: D1D30316 045B1388
	v_max3_f32 v22, |v138|, |v139|, v22                        // 0000000050E0: D1D30316 045B178A
	v_max3_f32 v23, |v140|, |v141|, v23                        // 0000000050E8: D1D30317 045F1B8C
	v_max3_f32 v23, |v142|, |v143|, v23                        // 0000000050F0: D1D30317 045F1F8E
	v_max3_f32 v22, |v144|, |v145|, v22                        // 0000000050F8: D1D30316 045B2390
	v_max3_f32 v22, |v146|, |v147|, v22                        // 000000005100: D1D30316 045B2792
	v_max3_f32 v23, |v148|, |v149|, v23                        // 000000005108: D1D30317 045F2B94
	v_max3_f32 v23, |v150|, |v151|, v23                        // 000000005110: D1D30317 045F2F96
	v_max3_f32 v22, |v152|, |v153|, v22                        // 000000005118: D1D30316 045B3398
	v_max3_f32 v22, |v154|, |v155|, v22                        // 000000005120: D1D30316 045B379A
	v_max3_f32 v23, |v156|, |v157|, v23                        // 000000005128: D1D30317 045F3B9C
	v_max3_f32 v23, |v158|, |v159|, v23                        // 000000005130: D1D30317 045F3F9E
	v_max3_f32 v22, |v160|, |v161|, v22                        // 000000005138: D1D30316 045B43A0
	v_max3_f32 v22, |v162|, |v163|, v22                        // 000000005140: D1D30316 045B47A2
	v_max3_f32 v23, |v164|, |v165|, v23                        // 000000005148: D1D30317 045F4BA4
	v_max3_f32 v23, |v166|, |v167|, v23                        // 000000005150: D1D30317 045F4FA6
	v_max3_f32 v22, |v168|, |v169|, v22                        // 000000005158: D1D30316 045B53A8
	v_max3_f32 v22, |v170|, |v171|, v22                        // 000000005160: D1D30316 045B57AA
	v_max3_f32 v23, |v172|, |v173|, v23                        // 000000005168: D1D30317 045F5BAC
	v_max3_f32 v23, |v174|, |v175|, v23                        // 000000005170: D1D30317 045F5FAE
	v_max3_f32 v22, |v176|, |v177|, v22                        // 000000005178: D1D30316 045B63B0
	v_max3_f32 v22, |v178|, |v179|, v22                        // 000000005180: D1D30316 045B67B2
	v_max3_f32 v23, |v180|, |v181|, v23                        // 000000005188: D1D30317 045F6BB4
	v_max3_f32 v23, |v182|, |v183|, v23                        // 000000005190: D1D30317 045F6FB6
	v_lshlrev_b32_e32 v50, 3, v0                               // 000000005198: 24640083
	s_mul_i32 s60, 0x200, s7                                   // 00000000519C: 923C07FF 00000200
	v_add_u32_e32 v50, s60, v50                                // 0000000051A4: 6864643C
	ds_write_b64 v50, v[22:23] offset:16640                    // 0000000051A8: D89A4100 00001632
	s_waitcnt lgkmcnt(0)                                       // 0000000051B0: BF8CC07F
	s_barrier                                                  // 0000000051B4: BF8A0000
	v_and_b32_e32 v50, 15, v0                                  // 0000000051B8: 2664008F
	v_lshlrev_b32_e32 v50, 3, v50                              // 0000000051BC: 24646483
	ds_read_b64 v[96:97], v50 offset:16640                     // 0000000051C0: D8EC4100 60000032
	ds_read_b64 v[98:99], v50 offset:16768                     // 0000000051C8: D8EC4180 62000032
	ds_read_b64 v[100:101], v50 offset:16896                   // 0000000051D0: D8EC4200 64000032
	ds_read_b64 v[102:103], v50 offset:17024                   // 0000000051D8: D8EC4280 66000032
	ds_read_b64 v[104:105], v50 offset:17152                   // 0000000051E0: D8EC4300 68000032
	ds_read_b64 v[106:107], v50 offset:17280                   // 0000000051E8: D8EC4380 6A000032
	ds_read_b64 v[108:109], v50 offset:17408                   // 0000000051F0: D8EC4400 6C000032
	ds_read_b64 v[110:111], v50 offset:17536                   // 0000000051F8: D8EC4480 6E000032
	ds_read_b64 v[112:113], v50 offset:17664                   // 000000005200: D8EC4500 70000032
	ds_read_b64 v[114:115], v50 offset:17792                   // 000000005208: D8EC4580 72000032
	ds_read_b64 v[116:117], v50 offset:17920                   // 000000005210: D8EC4600 74000032
	ds_read_b64 v[118:119], v50 offset:18048                   // 000000005218: D8EC4680 76000032
	ds_read_b64 v[120:121], v50 offset:18176                   // 000000005220: D8EC4700 78000032
	ds_read_b64 v[122:123], v50 offset:18304                   // 000000005228: D8EC4780 7A000032
	ds_read_b64 v[124:125], v50 offset:18432                   // 000000005230: D8EC4800 7C000032
	ds_read_b64 v[126:127], v50 offset:18560                   // 000000005238: D8EC4880 7E000032
	s_waitcnt lgkmcnt(0)                                       // 000000005240: BF8CC07F
	v_max3_f32 v22, |v96|, |v98|, v22                          // 000000005244: D1D30316 045AC560
	v_max3_f32 v23, |v97|, |v99|, v23                          // 00000000524C: D1D30317 045EC761
	v_max3_f32 v22, |v100|, |v102|, v22                        // 000000005254: D1D30316 045ACD64
	v_max3_f32 v23, |v101|, |v103|, v23                        // 00000000525C: D1D30317 045ECF65
	v_max3_f32 v22, |v104|, |v106|, v22                        // 000000005264: D1D30316 045AD568
	v_max3_f32 v23, |v105|, |v107|, v23                        // 00000000526C: D1D30317 045ED769
	v_max3_f32 v22, |v108|, |v110|, v22                        // 000000005274: D1D30316 045ADD6C
	v_max3_f32 v23, |v109|, |v111|, v23                        // 00000000527C: D1D30317 045EDF6D
	v_max3_f32 v22, |v112|, |v114|, v22                        // 000000005284: D1D30316 045AE570
	v_max3_f32 v23, |v113|, |v115|, v23                        // 00000000528C: D1D30317 045EE771
	v_max3_f32 v22, |v116|, |v118|, v22                        // 000000005294: D1D30316 045AED74
	v_max3_f32 v23, |v117|, |v119|, v23                        // 00000000529C: D1D30317 045EEF75
	v_max3_f32 v22, |v120|, |v122|, v22                        // 0000000052A4: D1D30316 045AF578
	v_max3_f32 v23, |v121|, |v123|, v23                        // 0000000052AC: D1D30317 045EF779
	v_max3_f32 v22, |v124|, |v126|, v22                        // 0000000052B4: D1D30316 045AFD7C
	v_max3_f32 v23, |v125|, |v127|, v23                        // 0000000052BC: D1D30317 045EFF7D
	v_rcp_f32_e32 v22, v22                                     // 0000000052C4: 7E2C4516
	v_rcp_f32_e32 v23, v23                                     // 0000000052C8: 7E2E4517
	v_mul_f32_e32 v22, 0x42fe0000, v22                         // 0000000052CC: 0A2C2CFF 42FE0000
	v_mul_f32_e32 v23, 0x42fe0000, v23                         // 0000000052D4: 0A2E2EFF 42FE0000
	v_mul_f32_e32 v128, v22, v128                              // 0000000052DC: 0B010116
	v_mul_f32_e32 v129, v22, v129                              // 0000000052E0: 0B030316
	v_mul_f32_e32 v130, v22, v130                              // 0000000052E4: 0B050516
	v_mul_f32_e32 v131, v22, v131                              // 0000000052E8: 0B070716
	v_cvt_i32_f32_e32 v128, v128                               // 0000000052EC: 7F001180
	v_cvt_i32_f32_e32 v129, v129                               // 0000000052F0: 7F021181
	v_cvt_i32_f32_e32 v130, v130                               // 0000000052F4: 7F041182
	v_cvt_i32_f32_e32 v131, v131                               // 0000000052F8: 7F061183
	v_perm_b32 v128, v129, v128, s53                           // 0000000052FC: D1ED0080 00D70181
	v_perm_b32 v128, v130, v128, s54                           // 000000005304: D1ED0080 00DB0182
	v_perm_b32 v128, v131, v128, s55                           // 00000000530C: D1ED0080 00DF0183
	v_mul_f32_e32 v132, v23, v132                              // 000000005314: 0B090917
	v_mul_f32_e32 v133, v23, v133                              // 000000005318: 0B0B0B17
	v_mul_f32_e32 v134, v23, v134                              // 00000000531C: 0B0D0D17
	v_mul_f32_e32 v135, v23, v135                              // 000000005320: 0B0F0F17
	v_cvt_i32_f32_e32 v132, v132                               // 000000005324: 7F081184
	v_cvt_i32_f32_e32 v133, v133                               // 000000005328: 7F0A1185
	v_cvt_i32_f32_e32 v134, v134                               // 00000000532C: 7F0C1186
	v_cvt_i32_f32_e32 v135, v135                               // 000000005330: 7F0E1187
	v_perm_b32 v129, v133, v132, s53                           // 000000005334: D1ED0081 00D70985
	v_perm_b32 v129, v134, v129, s54                           // 00000000533C: D1ED0081 00DB0386
	v_perm_b32 v129, v135, v129, s55                           // 000000005344: D1ED0081 00DF0387
	v_mul_f32_e32 v136, v22, v136                              // 00000000534C: 0B111116
	v_mul_f32_e32 v137, v22, v137                              // 000000005350: 0B131316
	v_mul_f32_e32 v138, v22, v138                              // 000000005354: 0B151516
	v_mul_f32_e32 v139, v22, v139                              // 000000005358: 0B171716
	v_cvt_i32_f32_e32 v136, v136                               // 00000000535C: 7F101188
	v_cvt_i32_f32_e32 v137, v137                               // 000000005360: 7F121189
	v_cvt_i32_f32_e32 v138, v138                               // 000000005364: 7F14118A
	v_cvt_i32_f32_e32 v139, v139                               // 000000005368: 7F16118B
	v_perm_b32 v130, v137, v136, s53                           // 00000000536C: D1ED0082 00D71189
	v_perm_b32 v130, v138, v130, s54                           // 000000005374: D1ED0082 00DB058A
	v_perm_b32 v130, v139, v130, s55                           // 00000000537C: D1ED0082 00DF058B
	v_mul_f32_e32 v140, v23, v140                              // 000000005384: 0B191917
	v_mul_f32_e32 v141, v23, v141                              // 000000005388: 0B1B1B17
	v_mul_f32_e32 v142, v23, v142                              // 00000000538C: 0B1D1D17
	v_mul_f32_e32 v143, v23, v143                              // 000000005390: 0B1F1F17
	v_cvt_i32_f32_e32 v140, v140                               // 000000005394: 7F18118C
	v_cvt_i32_f32_e32 v141, v141                               // 000000005398: 7F1A118D
	v_cvt_i32_f32_e32 v142, v142                               // 00000000539C: 7F1C118E
	v_cvt_i32_f32_e32 v143, v143                               // 0000000053A0: 7F1E118F
	v_perm_b32 v131, v141, v140, s53                           // 0000000053A4: D1ED0083 00D7198D
	v_perm_b32 v131, v142, v131, s54                           // 0000000053AC: D1ED0083 00DB078E
	v_perm_b32 v131, v143, v131, s55                           // 0000000053B4: D1ED0083 00DF078F
	v_mul_f32_e32 v144, v22, v144                              // 0000000053BC: 0B212116
	v_mul_f32_e32 v145, v22, v145                              // 0000000053C0: 0B232316
	v_mul_f32_e32 v146, v22, v146                              // 0000000053C4: 0B252516
	v_mul_f32_e32 v147, v22, v147                              // 0000000053C8: 0B272716
	v_cvt_i32_f32_e32 v144, v144                               // 0000000053CC: 7F201190
	v_cvt_i32_f32_e32 v145, v145                               // 0000000053D0: 7F221191
	v_cvt_i32_f32_e32 v146, v146                               // 0000000053D4: 7F241192
	v_cvt_i32_f32_e32 v147, v147                               // 0000000053D8: 7F261193
	v_perm_b32 v132, v145, v144, s53                           // 0000000053DC: D1ED0084 00D72191
	v_perm_b32 v132, v146, v132, s54                           // 0000000053E4: D1ED0084 00DB0992
	v_perm_b32 v132, v147, v132, s55                           // 0000000053EC: D1ED0084 00DF0993
	v_mul_f32_e32 v148, v23, v148                              // 0000000053F4: 0B292917
	v_mul_f32_e32 v149, v23, v149                              // 0000000053F8: 0B2B2B17
	v_mul_f32_e32 v150, v23, v150                              // 0000000053FC: 0B2D2D17
	v_mul_f32_e32 v151, v23, v151                              // 000000005400: 0B2F2F17
	v_cvt_i32_f32_e32 v148, v148                               // 000000005404: 7F281194
	v_cvt_i32_f32_e32 v149, v149                               // 000000005408: 7F2A1195
	v_cvt_i32_f32_e32 v150, v150                               // 00000000540C: 7F2C1196
	v_cvt_i32_f32_e32 v151, v151                               // 000000005410: 7F2E1197
	v_perm_b32 v133, v149, v148, s53                           // 000000005414: D1ED0085 00D72995
	v_perm_b32 v133, v150, v133, s54                           // 00000000541C: D1ED0085 00DB0B96
	v_perm_b32 v133, v151, v133, s55                           // 000000005424: D1ED0085 00DF0B97
	v_mul_f32_e32 v152, v22, v152                              // 00000000542C: 0B313116
	v_mul_f32_e32 v153, v22, v153                              // 000000005430: 0B333316
	v_mul_f32_e32 v154, v22, v154                              // 000000005434: 0B353516
	v_mul_f32_e32 v155, v22, v155                              // 000000005438: 0B373716
	v_cvt_i32_f32_e32 v152, v152                               // 00000000543C: 7F301198
	v_cvt_i32_f32_e32 v153, v153                               // 000000005440: 7F321199
	v_cvt_i32_f32_e32 v154, v154                               // 000000005444: 7F34119A
	v_cvt_i32_f32_e32 v155, v155                               // 000000005448: 7F36119B
	v_perm_b32 v134, v153, v152, s53                           // 00000000544C: D1ED0086 00D73199
	v_perm_b32 v134, v154, v134, s54                           // 000000005454: D1ED0086 00DB0D9A
	v_perm_b32 v134, v155, v134, s55                           // 00000000545C: D1ED0086 00DF0D9B
	v_mul_f32_e32 v156, v23, v156                              // 000000005464: 0B393917
	v_mul_f32_e32 v157, v23, v157                              // 000000005468: 0B3B3B17
	v_mul_f32_e32 v158, v23, v158                              // 00000000546C: 0B3D3D17
	v_mul_f32_e32 v159, v23, v159                              // 000000005470: 0B3F3F17
	v_cvt_i32_f32_e32 v156, v156                               // 000000005474: 7F38119C
	v_cvt_i32_f32_e32 v157, v157                               // 000000005478: 7F3A119D
	v_cvt_i32_f32_e32 v158, v158                               // 00000000547C: 7F3C119E
	v_cvt_i32_f32_e32 v159, v159                               // 000000005480: 7F3E119F
	v_perm_b32 v135, v157, v156, s53                           // 000000005484: D1ED0087 00D7399D
	v_perm_b32 v135, v158, v135, s54                           // 00000000548C: D1ED0087 00DB0F9E
	v_perm_b32 v135, v159, v135, s55                           // 000000005494: D1ED0087 00DF0F9F
	v_mul_f32_e32 v160, v22, v160                              // 00000000549C: 0B414116
	v_mul_f32_e32 v161, v22, v161                              // 0000000054A0: 0B434316
	v_mul_f32_e32 v162, v22, v162                              // 0000000054A4: 0B454516
	v_mul_f32_e32 v163, v22, v163                              // 0000000054A8: 0B474716
	v_cvt_i32_f32_e32 v160, v160                               // 0000000054AC: 7F4011A0
	v_cvt_i32_f32_e32 v161, v161                               // 0000000054B0: 7F4211A1
	v_cvt_i32_f32_e32 v162, v162                               // 0000000054B4: 7F4411A2
	v_cvt_i32_f32_e32 v163, v163                               // 0000000054B8: 7F4611A3
	v_perm_b32 v136, v161, v160, s53                           // 0000000054BC: D1ED0088 00D741A1
	v_perm_b32 v136, v162, v136, s54                           // 0000000054C4: D1ED0088 00DB11A2
	v_perm_b32 v136, v163, v136, s55                           // 0000000054CC: D1ED0088 00DF11A3
	v_mul_f32_e32 v164, v23, v164                              // 0000000054D4: 0B494917
	v_mul_f32_e32 v165, v23, v165                              // 0000000054D8: 0B4B4B17
	v_mul_f32_e32 v166, v23, v166                              // 0000000054DC: 0B4D4D17
	v_mul_f32_e32 v167, v23, v167                              // 0000000054E0: 0B4F4F17
	v_cvt_i32_f32_e32 v164, v164                               // 0000000054E4: 7F4811A4
	v_cvt_i32_f32_e32 v165, v165                               // 0000000054E8: 7F4A11A5
	v_cvt_i32_f32_e32 v166, v166                               // 0000000054EC: 7F4C11A6
	v_cvt_i32_f32_e32 v167, v167                               // 0000000054F0: 7F4E11A7
	v_perm_b32 v137, v165, v164, s53                           // 0000000054F4: D1ED0089 00D749A5
	v_perm_b32 v137, v166, v137, s54                           // 0000000054FC: D1ED0089 00DB13A6
	v_perm_b32 v137, v167, v137, s55                           // 000000005504: D1ED0089 00DF13A7
	v_mul_f32_e32 v168, v22, v168                              // 00000000550C: 0B515116
	v_mul_f32_e32 v169, v22, v169                              // 000000005510: 0B535316
	v_mul_f32_e32 v170, v22, v170                              // 000000005514: 0B555516
	v_mul_f32_e32 v171, v22, v171                              // 000000005518: 0B575716
	v_cvt_i32_f32_e32 v168, v168                               // 00000000551C: 7F5011A8
	v_cvt_i32_f32_e32 v169, v169                               // 000000005520: 7F5211A9
	v_cvt_i32_f32_e32 v170, v170                               // 000000005524: 7F5411AA
	v_cvt_i32_f32_e32 v171, v171                               // 000000005528: 7F5611AB
	v_perm_b32 v138, v169, v168, s53                           // 00000000552C: D1ED008A 00D751A9
	v_perm_b32 v138, v170, v138, s54                           // 000000005534: D1ED008A 00DB15AA
	v_perm_b32 v138, v171, v138, s55                           // 00000000553C: D1ED008A 00DF15AB
	v_mul_f32_e32 v172, v23, v172                              // 000000005544: 0B595917
	v_mul_f32_e32 v173, v23, v173                              // 000000005548: 0B5B5B17
	v_mul_f32_e32 v174, v23, v174                              // 00000000554C: 0B5D5D17
	v_mul_f32_e32 v175, v23, v175                              // 000000005550: 0B5F5F17
	v_cvt_i32_f32_e32 v172, v172                               // 000000005554: 7F5811AC
	v_cvt_i32_f32_e32 v173, v173                               // 000000005558: 7F5A11AD
	v_cvt_i32_f32_e32 v174, v174                               // 00000000555C: 7F5C11AE
	v_cvt_i32_f32_e32 v175, v175                               // 000000005560: 7F5E11AF
	v_perm_b32 v139, v173, v172, s53                           // 000000005564: D1ED008B 00D759AD
	v_perm_b32 v139, v174, v139, s54                           // 00000000556C: D1ED008B 00DB17AE
	v_perm_b32 v139, v175, v139, s55                           // 000000005574: D1ED008B 00DF17AF
	v_mul_f32_e32 v176, v22, v176                              // 00000000557C: 0B616116
	v_mul_f32_e32 v177, v22, v177                              // 000000005580: 0B636316
	v_mul_f32_e32 v178, v22, v178                              // 000000005584: 0B656516
	v_mul_f32_e32 v179, v22, v179                              // 000000005588: 0B676716
	v_cvt_i32_f32_e32 v176, v176                               // 00000000558C: 7F6011B0
	v_cvt_i32_f32_e32 v177, v177                               // 000000005590: 7F6211B1
	v_cvt_i32_f32_e32 v178, v178                               // 000000005594: 7F6411B2
	v_cvt_i32_f32_e32 v179, v179                               // 000000005598: 7F6611B3
	v_perm_b32 v140, v177, v176, s53                           // 00000000559C: D1ED008C 00D761B1
	v_perm_b32 v140, v178, v140, s54                           // 0000000055A4: D1ED008C 00DB19B2
	v_perm_b32 v140, v179, v140, s55                           // 0000000055AC: D1ED008C 00DF19B3
	v_mul_f32_e32 v180, v23, v180                              // 0000000055B4: 0B696917
	v_mul_f32_e32 v181, v23, v181                              // 0000000055B8: 0B6B6B17
	v_mul_f32_e32 v182, v23, v182                              // 0000000055BC: 0B6D6D17
	v_mul_f32_e32 v183, v23, v183                              // 0000000055C0: 0B6F6F17
	v_cvt_i32_f32_e32 v180, v180                               // 0000000055C4: 7F6811B4
	v_cvt_i32_f32_e32 v181, v181                               // 0000000055C8: 7F6A11B5
	v_cvt_i32_f32_e32 v182, v182                               // 0000000055CC: 7F6C11B6
	v_cvt_i32_f32_e32 v183, v183                               // 0000000055D0: 7F6E11B7
	v_perm_b32 v141, v181, v180, s53                           // 0000000055D4: D1ED008D 00D769B5
	v_perm_b32 v141, v182, v141, s54                           // 0000000055DC: D1ED008D 00DB1BB6
	v_perm_b32 v141, v183, v141, s55                           // 0000000055E4: D1ED008D 00DF1BB7
	v_rcp_f32_e32 v24, v22                                     // 0000000055EC: 7E304516
	v_rcp_f32_e32 v25, v23                                     // 0000000055F0: 7E324517
	v_lshrrev_b32_e32 v50, 5, v0                               // 0000000055F4: 20640085
	v_lshlrev_b32_e32 v51, 5, v50                              // 0000000055F8: 24666485
	v_and_b32_e32 v50, 31, v0                                  // 0000000055FC: 2664009F
	v_lshrrev_b32_e32 v52, 4, v50                              // 000000005600: 20686484
	v_add_u32_e32 v51, v52, v51                                // 000000005604: 68666734
	v_and_b32_e32 v50, 15, v0                                  // 000000005608: 2664008F
	v_lshlrev_b32_e32 v50, 1, v50                              // 00000000560C: 24646481
	v_add_u32_e32 v51, v50, v51                                // 000000005610: 68666732
	v_lshlrev_b32_e32 v50, 2, v51                              // 000000005614: 24646682
	s_mul_i32 s60, 0x100, s7                                   // 000000005618: 923C07FF 00000100
	v_add_u32_e64 v50, v50, s60                                // 000000005620: D1340032 00007932
	ds_write_b32 v50, v128 offset:18688                        // 000000005628: D81A4900 00008032
	ds_write_b32 v50, v129 offset:25856                        // 000000005630: D81A6500 00008132
	ds_write_b32 v50, v130 offset:19712                        // 000000005638: D81A4D00 00008232
	ds_write_b32 v50, v131 offset:26880                        // 000000005640: D81A6900 00008332
	ds_write_b32 v50, v132 offset:20736                        // 000000005648: D81A5100 00008432
	ds_write_b32 v50, v133 offset:27904                        // 000000005650: D81A6D00 00008532
	ds_write_b32 v50, v134 offset:21760                        // 000000005658: D81A5500 00008632
	ds_write_b32 v50, v135 offset:28928                        // 000000005660: D81A7100 00008732
	ds_write_b32 v50, v136 offset:22784                        // 000000005668: D81A5900 00008832
	ds_write_b32 v50, v137 offset:29952                        // 000000005670: D81A7500 00008932
	ds_write_b32 v50, v138 offset:23808                        // 000000005678: D81A5D00 00008A32
	ds_write_b32 v50, v139 offset:30976                        // 000000005680: D81A7900 00008B32
	ds_write_b32 v50, v140 offset:24832                        // 000000005688: D81A6100 00008C32
	ds_write_b32 v50, v141 offset:32000                        // 000000005690: D81A7D00 00008D32
	s_waitcnt lgkmcnt(0)                                       // 000000005698: BF8CC07F
	s_barrier                                                  // 00000000569C: BF8A0000
	v_lshrrev_b32_e32 v50, 4, v0                               // 0000000056A0: 20640084
	v_lshlrev_b32_e32 v51, 6, v50                              // 0000000056A4: 24666486
	v_and_b32_e32 v50, 15, v0                                  // 0000000056A8: 2664008F
	v_lshlrev_b32_e32 v50, 1, v50                              // 0000000056AC: 24646481
	v_add_u32_e32 v51, v50, v51                                // 0000000056B0: 68666732
	v_lshlrev_b32_e32 v50, 2, v51                              // 0000000056B4: 24646682
	ds_read_b64 v[128:129], v50 offset:18688                   // 0000000056B8: D8EC4900 80000032
	ds_read_b64 v[130:131], v50 offset:18816                   // 0000000056C0: D8EC4980 82000032
	ds_read_b64 v[132:133], v50 offset:19712                   // 0000000056C8: D8EC4D00 84000032
	ds_read_b64 v[134:135], v50 offset:19840                   // 0000000056D0: D8EC4D80 86000032
	ds_read_b64 v[136:137], v50 offset:20736                   // 0000000056D8: D8EC5100 88000032
	ds_read_b64 v[138:139], v50 offset:20864                   // 0000000056E0: D8EC5180 8A000032
	ds_read_b64 v[140:141], v50 offset:21760                   // 0000000056E8: D8EC5500 8C000032
	ds_read_b64 v[142:143], v50 offset:21888                   // 0000000056F0: D8EC5580 8E000032
	ds_read_b64 v[144:145], v50 offset:22784                   // 0000000056F8: D8EC5900 90000032
	ds_read_b64 v[146:147], v50 offset:22912                   // 000000005700: D8EC5980 92000032
	ds_read_b64 v[148:149], v50 offset:23808                   // 000000005708: D8EC5D00 94000032
	ds_read_b64 v[150:151], v50 offset:23936                   // 000000005710: D8EC5D80 96000032
	ds_read_b64 v[152:153], v50 offset:24832                   // 000000005718: D8EC6100 98000032
	ds_read_b64 v[154:155], v50 offset:24960                   // 000000005720: D8EC6180 9A000032
	ds_read_b64 v[156:157], v50 offset:25856                   // 000000005728: D8EC6500 9C000032
	ds_read_b64 v[158:159], v50 offset:25984                   // 000000005730: D8EC6580 9E000032
	ds_read_b64 v[160:161], v50 offset:26880                   // 000000005738: D8EC6900 A0000032
	ds_read_b64 v[162:163], v50 offset:27008                   // 000000005740: D8EC6980 A2000032
	ds_read_b64 v[164:165], v50 offset:27904                   // 000000005748: D8EC6D00 A4000032
	ds_read_b64 v[166:167], v50 offset:28032                   // 000000005750: D8EC6D80 A6000032
	ds_read_b64 v[168:169], v50 offset:28928                   // 000000005758: D8EC7100 A8000032
	ds_read_b64 v[170:171], v50 offset:29056                   // 000000005760: D8EC7180 AA000032
	ds_read_b64 v[172:173], v50 offset:29952                   // 000000005768: D8EC7500 AC000032
	ds_read_b64 v[174:175], v50 offset:30080                   // 000000005770: D8EC7580 AE000032
	ds_read_b64 v[176:177], v50 offset:30976                   // 000000005778: D8EC7900 B0000032
	ds_read_b64 v[178:179], v50 offset:31104                   // 000000005780: D8EC7980 B2000032
	ds_read_b64 v[180:181], v50 offset:32000                   // 000000005788: D8EC7D00 B4000032
	ds_read_b64 v[182:183], v50 offset:32128                   // 000000005790: D8EC7D80 B6000032
	s_add_u32 s12, s56, s12                                    // 000000005798: 800C0C38
	s_addc_u32 s13, 0, s13                                     // 00000000579C: 820D0D80
	s_add_u32 s16, s79, s16                                    // 0000000057A0: 8010104F
	s_addc_u32 s17, 0, s17                                     // 0000000057A4: 82111180
	s_mov_b32 s80, 0                                           // 0000000057A8: BED00080
	s_waitcnt vmcnt(0) expcnt(0) lgkmcnt(0)                    // 0000000057AC: BF8C0000

00000000000057b0 <label_0B2C>:
	s_waitcnt vmcnt(41)                                        // 0000000057B0: BF8C8F79
	s_barrier                                                  // 0000000057B4: BF8A0000
	v_mfma_i32_16x16x32_i8 v[184:187], a[0:1], v[128:129], 0   // 0000000057B8: D3D700B8 0A030100
	v_mfma_i32_16x16x32_i8 v[184:187], a[2:3], v[130:131], v[184:187]// 0000000057C0: D3D700B8 0EE30502
	buffer_load_dwordx4 a[112:115], v41, s[12:15], 0 offen     // 0000000057C8: E05C1000 80837029
	v_mfma_i32_16x16x32_i8 v[188:191], a[0:1], v[156:157], 0   // 0000000057D0: D3D700BC 0A033900
	v_mfma_i32_16x16x32_i8 v[188:191], a[2:3], v[158:159], v[188:191]// 0000000057D8: D3D700BC 0EF33D02
	v_mfma_i32_16x16x32_i8 v[192:195], a[4:5], v[128:129], 0   // 0000000057E0: D3D700C0 0A030104
	v_mfma_i32_16x16x32_i8 v[192:195], a[6:7], v[130:131], v[192:195]// 0000000057E8: D3D700C0 0F030506
	buffer_load_dwordx4 a[116:119], v42, s[12:15], 0 offen     // 0000000057F0: E05C1000 8083742A
	v_mfma_i32_16x16x32_i8 v[196:199], a[4:5], v[156:157], 0   // 0000000057F8: D3D700C4 0A033904
	v_mfma_i32_16x16x32_i8 v[196:199], a[6:7], v[158:159], v[196:199]// 000000005800: D3D700C4 0F133D06
	v_mfma_i32_16x16x32_i8 v[200:203], a[8:9], v[128:129], 0   // 000000005808: D3D700C8 0A030108
	v_mfma_i32_16x16x32_i8 v[200:203], a[10:11], v[130:131], v[200:203]// 000000005810: D3D700C8 0F23050A
	buffer_load_dwordx4 a[120:123], v43, s[12:15], 0 offen     // 000000005818: E05C1000 8083782B
	v_mfma_i32_16x16x32_i8 v[204:207], a[8:9], v[156:157], 0   // 000000005820: D3D700CC 0A033908
	v_mfma_i32_16x16x32_i8 v[204:207], a[10:11], v[158:159], v[204:207]// 000000005828: D3D700CC 0F333D0A
	v_mfma_i32_16x16x32_i8 v[208:211], a[12:13], v[128:129], 0 // 000000005830: D3D700D0 0A03010C
	v_mfma_i32_16x16x32_i8 v[208:211], a[14:15], v[130:131], v[208:211]// 000000005838: D3D700D0 0F43050E
	buffer_load_dwordx4 a[124:127], v44, s[12:15], 0 offen     // 000000005840: E05C1000 80837C2C
	s_add_u32 s12, s78, s12                                    // 000000005848: 800C0C4E
	s_addc_u32 s13, 0, s13                                     // 00000000584C: 820D0D80
	v_mfma_i32_16x16x32_i8 v[212:215], a[12:13], v[156:157], 0 // 000000005850: D3D700D4 0A03390C
	v_mfma_i32_16x16x32_i8 v[212:215], a[14:15], v[158:159], v[212:215]// 000000005858: D3D700D4 0F533D0E
	s_waitcnt vmcnt(41)                                        // 000000005860: BF8C8F79
	v_mfma_i32_16x16x32_i8 v[184:187], a[16:17], v[132:133], v[184:187]// 000000005864: D3D700B8 0EE30910
	v_mfma_i32_16x16x32_i8 v[184:187], a[18:19], v[134:135], v[184:187]// 00000000586C: D3D700B8 0EE30D12
	buffer_load_dwordx4 a[128:131], v41, s[12:15], 0 offen     // 000000005874: E05C1000 80838029
	v_mfma_i32_16x16x32_i8 v[188:191], a[16:17], v[160:161], v[188:191]// 00000000587C: D3D700BC 0EF34110
	v_mfma_i32_16x16x32_i8 v[188:191], a[18:19], v[162:163], v[188:191]// 000000005884: D3D700BC 0EF34512
	v_mfma_i32_16x16x32_i8 v[192:195], a[20:21], v[132:133], v[192:195]// 00000000588C: D3D700C0 0F030914
	v_mfma_i32_16x16x32_i8 v[192:195], a[22:23], v[134:135], v[192:195]// 000000005894: D3D700C0 0F030D16
	buffer_load_dwordx4 a[132:135], v42, s[12:15], 0 offen     // 00000000589C: E05C1000 8083842A
	v_mfma_i32_16x16x32_i8 v[196:199], a[20:21], v[160:161], v[196:199]// 0000000058A4: D3D700C4 0F134114
	v_mfma_i32_16x16x32_i8 v[196:199], a[22:23], v[162:163], v[196:199]// 0000000058AC: D3D700C4 0F134516
	v_mfma_i32_16x16x32_i8 v[200:203], a[24:25], v[132:133], v[200:203]// 0000000058B4: D3D700C8 0F230918
	v_mfma_i32_16x16x32_i8 v[200:203], a[26:27], v[134:135], v[200:203]// 0000000058BC: D3D700C8 0F230D1A
	buffer_load_dwordx4 a[136:139], v43, s[12:15], 0 offen     // 0000000058C4: E05C1000 8083882B
	v_mfma_i32_16x16x32_i8 v[204:207], a[24:25], v[160:161], v[204:207]// 0000000058CC: D3D700CC 0F334118
	v_mfma_i32_16x16x32_i8 v[204:207], a[26:27], v[162:163], v[204:207]// 0000000058D4: D3D700CC 0F33451A
	v_mfma_i32_16x16x32_i8 v[208:211], a[28:29], v[132:133], v[208:211]// 0000000058DC: D3D700D0 0F43091C
	v_mfma_i32_16x16x32_i8 v[208:211], a[30:31], v[134:135], v[208:211]// 0000000058E4: D3D700D0 0F430D1E
	buffer_load_dwordx4 a[140:143], v44, s[12:15], 0 offen     // 0000000058EC: E05C1000 80838C2C
	s_add_u32 s12, s78, s12                                    // 0000000058F4: 800C0C4E
	s_addc_u32 s13, 0, s13                                     // 0000000058F8: 820D0D80
	v_mfma_i32_16x16x32_i8 v[212:215], a[28:29], v[160:161], v[212:215]// 0000000058FC: D3D700D4 0F53411C
	v_mfma_i32_16x16x32_i8 v[212:215], a[30:31], v[162:163], v[212:215]// 000000005904: D3D700D4 0F53451E
	s_waitcnt vmcnt(41)                                        // 00000000590C: BF8C8F79
	v_mfma_i32_16x16x32_i8 v[184:187], a[32:33], v[136:137], v[184:187]// 000000005910: D3D700B8 0EE31120
	v_mfma_i32_16x16x32_i8 v[184:187], a[34:35], v[138:139], v[184:187]// 000000005918: D3D700B8 0EE31522
	buffer_load_dwordx4 a[144:147], v41, s[12:15], 0 offen     // 000000005920: E05C1000 80839029
	v_mfma_i32_16x16x32_i8 v[188:191], a[32:33], v[164:165], v[188:191]// 000000005928: D3D700BC 0EF34920
	v_mfma_i32_16x16x32_i8 v[188:191], a[34:35], v[166:167], v[188:191]// 000000005930: D3D700BC 0EF34D22
	v_mfma_i32_16x16x32_i8 v[192:195], a[36:37], v[136:137], v[192:195]// 000000005938: D3D700C0 0F031124
	v_mfma_i32_16x16x32_i8 v[192:195], a[38:39], v[138:139], v[192:195]// 000000005940: D3D700C0 0F031526
	buffer_load_dwordx4 a[148:151], v42, s[12:15], 0 offen     // 000000005948: E05C1000 8083942A
	v_mfma_i32_16x16x32_i8 v[196:199], a[36:37], v[164:165], v[196:199]// 000000005950: D3D700C4 0F134924
	v_mfma_i32_16x16x32_i8 v[196:199], a[38:39], v[166:167], v[196:199]// 000000005958: D3D700C4 0F134D26
	v_mfma_i32_16x16x32_i8 v[200:203], a[40:41], v[136:137], v[200:203]// 000000005960: D3D700C8 0F231128
	v_mfma_i32_16x16x32_i8 v[200:203], a[42:43], v[138:139], v[200:203]// 000000005968: D3D700C8 0F23152A
	buffer_load_dwordx4 a[152:155], v43, s[12:15], 0 offen     // 000000005970: E05C1000 8083982B
	v_mfma_i32_16x16x32_i8 v[204:207], a[40:41], v[164:165], v[204:207]// 000000005978: D3D700CC 0F334928
	v_mfma_i32_16x16x32_i8 v[204:207], a[42:43], v[166:167], v[204:207]// 000000005980: D3D700CC 0F334D2A
	v_mfma_i32_16x16x32_i8 v[208:211], a[44:45], v[136:137], v[208:211]// 000000005988: D3D700D0 0F43112C
	v_mfma_i32_16x16x32_i8 v[208:211], a[46:47], v[138:139], v[208:211]// 000000005990: D3D700D0 0F43152E
	buffer_load_dwordx4 a[156:159], v44, s[12:15], 0 offen     // 000000005998: E05C1000 80839C2C
	s_add_u32 s12, s78, s12                                    // 0000000059A0: 800C0C4E
	s_addc_u32 s13, 0, s13                                     // 0000000059A4: 820D0D80
	v_mfma_i32_16x16x32_i8 v[212:215], a[44:45], v[164:165], v[212:215]// 0000000059A8: D3D700D4 0F53492C
	v_mfma_i32_16x16x32_i8 v[212:215], a[46:47], v[166:167], v[212:215]// 0000000059B0: D3D700D4 0F534D2E
	s_waitcnt vmcnt(41)                                        // 0000000059B8: BF8C8F79
	v_mfma_i32_16x16x32_i8 v[184:187], a[48:49], v[140:141], v[184:187]// 0000000059BC: D3D700B8 0EE31930
	v_mfma_i32_16x16x32_i8 v[184:187], a[50:51], v[142:143], v[184:187]// 0000000059C4: D3D700B8 0EE31D32
	buffer_load_dwordx4 a[160:163], v41, s[12:15], 0 offen     // 0000000059CC: E05C1000 8083A029
	v_mfma_i32_16x16x32_i8 v[188:191], a[48:49], v[168:169], v[188:191]// 0000000059D4: D3D700BC 0EF35130
	v_mfma_i32_16x16x32_i8 v[188:191], a[50:51], v[170:171], v[188:191]// 0000000059DC: D3D700BC 0EF35532
	v_mfma_i32_16x16x32_i8 v[192:195], a[52:53], v[140:141], v[192:195]// 0000000059E4: D3D700C0 0F031934
	v_mfma_i32_16x16x32_i8 v[192:195], a[54:55], v[142:143], v[192:195]// 0000000059EC: D3D700C0 0F031D36
	buffer_load_dwordx4 a[164:167], v42, s[12:15], 0 offen     // 0000000059F4: E05C1000 8083A42A
	v_mfma_i32_16x16x32_i8 v[196:199], a[52:53], v[168:169], v[196:199]// 0000000059FC: D3D700C4 0F135134
	v_mfma_i32_16x16x32_i8 v[196:199], a[54:55], v[170:171], v[196:199]// 000000005A04: D3D700C4 0F135536
	v_mfma_i32_16x16x32_i8 v[200:203], a[56:57], v[140:141], v[200:203]// 000000005A0C: D3D700C8 0F231938
	v_mfma_i32_16x16x32_i8 v[200:203], a[58:59], v[142:143], v[200:203]// 000000005A14: D3D700C8 0F231D3A
	buffer_load_dwordx4 a[168:171], v43, s[12:15], 0 offen     // 000000005A1C: E05C1000 8083A82B
	v_mfma_i32_16x16x32_i8 v[204:207], a[56:57], v[168:169], v[204:207]// 000000005A24: D3D700CC 0F335138
	v_mfma_i32_16x16x32_i8 v[204:207], a[58:59], v[170:171], v[204:207]// 000000005A2C: D3D700CC 0F33553A
	v_mfma_i32_16x16x32_i8 v[208:211], a[60:61], v[140:141], v[208:211]// 000000005A34: D3D700D0 0F43193C
	v_mfma_i32_16x16x32_i8 v[208:211], a[62:63], v[142:143], v[208:211]// 000000005A3C: D3D700D0 0F431D3E
	buffer_load_dwordx4 a[172:175], v44, s[12:15], 0 offen     // 000000005A44: E05C1000 8083AC2C
	s_add_u32 s12, s78, s12                                    // 000000005A4C: 800C0C4E
	s_addc_u32 s13, 0, s13                                     // 000000005A50: 820D0D80
	v_mfma_i32_16x16x32_i8 v[212:215], a[60:61], v[168:169], v[212:215]// 000000005A54: D3D700D4 0F53513C
	v_mfma_i32_16x16x32_i8 v[212:215], a[62:63], v[170:171], v[212:215]// 000000005A5C: D3D700D4 0F53553E
	s_waitcnt vmcnt(41)                                        // 000000005A64: BF8C8F79
	v_mfma_i32_16x16x32_i8 v[184:187], a[64:65], v[144:145], v[184:187]// 000000005A68: D3D700B8 0EE32140
	v_mfma_i32_16x16x32_i8 v[184:187], a[66:67], v[146:147], v[184:187]// 000000005A70: D3D700B8 0EE32542
	buffer_load_dwordx4 a[176:179], v41, s[12:15], 0 offen     // 000000005A78: E05C1000 8083B029
	v_mfma_i32_16x16x32_i8 v[188:191], a[64:65], v[172:173], v[188:191]// 000000005A80: D3D700BC 0EF35940
	v_mfma_i32_16x16x32_i8 v[188:191], a[66:67], v[174:175], v[188:191]// 000000005A88: D3D700BC 0EF35D42
	v_mfma_i32_16x16x32_i8 v[192:195], a[68:69], v[144:145], v[192:195]// 000000005A90: D3D700C0 0F032144
	v_mfma_i32_16x16x32_i8 v[192:195], a[70:71], v[146:147], v[192:195]// 000000005A98: D3D700C0 0F032546
	buffer_load_dwordx4 a[180:183], v42, s[12:15], 0 offen     // 000000005AA0: E05C1000 8083B42A
	v_mfma_i32_16x16x32_i8 v[196:199], a[68:69], v[172:173], v[196:199]// 000000005AA8: D3D700C4 0F135944
	v_mfma_i32_16x16x32_i8 v[196:199], a[70:71], v[174:175], v[196:199]// 000000005AB0: D3D700C4 0F135D46
	v_mfma_i32_16x16x32_i8 v[200:203], a[72:73], v[144:145], v[200:203]// 000000005AB8: D3D700C8 0F232148
	v_mfma_i32_16x16x32_i8 v[200:203], a[74:75], v[146:147], v[200:203]// 000000005AC0: D3D700C8 0F23254A
	buffer_load_dwordx4 a[184:187], v43, s[12:15], 0 offen     // 000000005AC8: E05C1000 8083B82B
	v_mfma_i32_16x16x32_i8 v[204:207], a[72:73], v[172:173], v[204:207]// 000000005AD0: D3D700CC 0F335948
	v_mfma_i32_16x16x32_i8 v[204:207], a[74:75], v[174:175], v[204:207]// 000000005AD8: D3D700CC 0F335D4A
	v_mfma_i32_16x16x32_i8 v[208:211], a[76:77], v[144:145], v[208:211]// 000000005AE0: D3D700D0 0F43214C
	v_mfma_i32_16x16x32_i8 v[208:211], a[78:79], v[146:147], v[208:211]// 000000005AE8: D3D700D0 0F43254E
	buffer_load_dwordx4 a[188:191], v44, s[12:15], 0 offen     // 000000005AF0: E05C1000 8083BC2C
	s_add_u32 s12, s78, s12                                    // 000000005AF8: 800C0C4E
	s_addc_u32 s13, 0, s13                                     // 000000005AFC: 820D0D80
	v_mfma_i32_16x16x32_i8 v[212:215], a[76:77], v[172:173], v[212:215]// 000000005B00: D3D700D4 0F53594C
	v_mfma_i32_16x16x32_i8 v[212:215], a[78:79], v[174:175], v[212:215]// 000000005B08: D3D700D4 0F535D4E
	s_waitcnt vmcnt(41)                                        // 000000005B10: BF8C8F79
	v_mfma_i32_16x16x32_i8 v[184:187], a[80:81], v[148:149], v[184:187]// 000000005B14: D3D700B8 0EE32950
	v_mfma_i32_16x16x32_i8 v[184:187], a[82:83], v[150:151], v[184:187]// 000000005B1C: D3D700B8 0EE32D52
	buffer_load_dwordx4 a[192:195], v41, s[12:15], 0 offen     // 000000005B24: E05C1000 8083C029
	v_mfma_i32_16x16x32_i8 v[188:191], a[80:81], v[176:177], v[188:191]// 000000005B2C: D3D700BC 0EF36150
	v_mfma_i32_16x16x32_i8 v[188:191], a[82:83], v[178:179], v[188:191]// 000000005B34: D3D700BC 0EF36552
	v_mfma_i32_16x16x32_i8 v[192:195], a[84:85], v[148:149], v[192:195]// 000000005B3C: D3D700C0 0F032954
	v_mfma_i32_16x16x32_i8 v[192:195], a[86:87], v[150:151], v[192:195]// 000000005B44: D3D700C0 0F032D56
	buffer_load_dwordx4 a[196:199], v42, s[12:15], 0 offen     // 000000005B4C: E05C1000 8083C42A
	v_mfma_i32_16x16x32_i8 v[196:199], a[84:85], v[176:177], v[196:199]// 000000005B54: D3D700C4 0F136154
	v_mfma_i32_16x16x32_i8 v[196:199], a[86:87], v[178:179], v[196:199]// 000000005B5C: D3D700C4 0F136556
	v_mfma_i32_16x16x32_i8 v[200:203], a[88:89], v[148:149], v[200:203]// 000000005B64: D3D700C8 0F232958
	v_mfma_i32_16x16x32_i8 v[200:203], a[90:91], v[150:151], v[200:203]// 000000005B6C: D3D700C8 0F232D5A
	buffer_load_dwordx4 a[200:203], v43, s[12:15], 0 offen     // 000000005B74: E05C1000 8083C82B
	v_mfma_i32_16x16x32_i8 v[204:207], a[88:89], v[176:177], v[204:207]// 000000005B7C: D3D700CC 0F336158
	v_mfma_i32_16x16x32_i8 v[204:207], a[90:91], v[178:179], v[204:207]// 000000005B84: D3D700CC 0F33655A
	v_mfma_i32_16x16x32_i8 v[208:211], a[92:93], v[148:149], v[208:211]// 000000005B8C: D3D700D0 0F43295C
	v_mfma_i32_16x16x32_i8 v[208:211], a[94:95], v[150:151], v[208:211]// 000000005B94: D3D700D0 0F432D5E
	buffer_load_dwordx4 a[204:207], v44, s[12:15], 0 offen     // 000000005B9C: E05C1000 8083CC2C
	s_add_u32 s12, s78, s12                                    // 000000005BA4: 800C0C4E
	s_addc_u32 s13, 0, s13                                     // 000000005BA8: 820D0D80
	v_mfma_i32_16x16x32_i8 v[212:215], a[92:93], v[176:177], v[212:215]// 000000005BAC: D3D700D4 0F53615C
	v_mfma_i32_16x16x32_i8 v[212:215], a[94:95], v[178:179], v[212:215]// 000000005BB4: D3D700D4 0F53655E
	s_waitcnt vmcnt(40)                                        // 000000005BBC: BF8C8F78
	v_mfma_i32_16x16x32_i8 v[184:187], a[96:97], v[152:153], v[184:187]// 000000005BC0: D3D700B8 0EE33160
	v_mfma_i32_16x16x32_i8 v[184:187], a[98:99], v[154:155], v[184:187]// 000000005BC8: D3D700B8 0EE33562
	buffer_load_dwordx4 a[208:211], v41, s[12:15], 0 offen     // 000000005BD0: E05C1000 8083D029
	v_mfma_i32_16x16x32_i8 v[188:191], a[96:97], v[180:181], v[188:191]// 000000005BD8: D3D700BC 0EF36960
	v_mfma_i32_16x16x32_i8 v[188:191], a[98:99], v[182:183], v[188:191]// 000000005BE0: D3D700BC 0EF36D62
	buffer_load_dword v13, v5, s[16:19], 0 offen               // 000000005BE8: E0501000 80040D05
	v_mfma_i32_16x16x32_i8 v[192:195], a[100:101], v[152:153], v[192:195]// 000000005BF0: D3D700C0 0F033164
	v_mfma_i32_16x16x32_i8 v[192:195], a[102:103], v[154:155], v[192:195]// 000000005BF8: D3D700C0 0F033566
	buffer_load_dwordx4 a[212:215], v42, s[12:15], 0 offen     // 000000005C00: E05C1000 8083D42A
	v_mfma_i32_16x16x32_i8 v[196:199], a[100:101], v[180:181], v[196:199]// 000000005C08: D3D700C4 0F136964
	v_mfma_i32_16x16x32_i8 v[196:199], a[102:103], v[182:183], v[196:199]// 000000005C10: D3D700C4 0F136D66
	v_mfma_i32_16x16x32_i8 v[200:203], a[104:105], v[152:153], v[200:203]// 000000005C18: D3D700C8 0F233168
	v_mfma_i32_16x16x32_i8 v[200:203], a[106:107], v[154:155], v[200:203]// 000000005C20: D3D700C8 0F23356A
	buffer_load_dwordx4 a[216:219], v43, s[12:15], 0 offen     // 000000005C28: E05C1000 8083D82B
	v_mfma_i32_16x16x32_i8 v[204:207], a[104:105], v[180:181], v[204:207]// 000000005C30: D3D700CC 0F336968
	v_mfma_i32_16x16x32_i8 v[204:207], a[106:107], v[182:183], v[204:207]// 000000005C38: D3D700CC 0F336D6A
	v_mfma_i32_16x16x32_i8 v[208:211], a[108:109], v[152:153], v[208:211]// 000000005C40: D3D700D0 0F43316C
	v_mfma_i32_16x16x32_i8 v[208:211], a[110:111], v[154:155], v[208:211]// 000000005C48: D3D700D0 0F43356E
	buffer_load_dwordx4 a[220:223], v44, s[12:15], 0 offen     // 000000005C50: E05C1000 8083DC2C
	v_mfma_i32_16x16x32_i8 v[212:215], a[108:109], v[180:181], v[212:215]// 000000005C58: D3D700D4 0F53696C
	v_mfma_i32_16x16x32_i8 v[212:215], a[110:111], v[182:183], v[212:215]// 000000005C60: D3D700D4 0F536D6E
	s_add_u32 s60, 0x200, s80                                  // 000000005C68: 803C50FF 00000200
	s_cmp_lt_u32 s60, s81                                      // 000000005C70: BF0A513C
	s_cselect_b32 s56, s56, 0                                  // 000000005C74: 85388038
	s_cselect_b32 s78, s78, 0                                  // 000000005C78: 854E804E
	s_cselect_b32 s79, s79, 0                                  // 000000005C7C: 854F804F
	s_add_u32 s12, s56, s12                                    // 000000005C80: 800C0C38
	s_addc_u32 s13, 0, s13                                     // 000000005C84: 820D0D80
	s_add_u32 s16, s79, s16                                    // 000000005C88: 8010104F
	s_addc_u32 s17, 0, s17                                     // 000000005C8C: 82111180
	v_cvt_f32_i32_e32 v184, v184                               // 000000005C90: 7F700BB8
	v_cvt_f32_i32_e32 v185, v185                               // 000000005C94: 7F720BB9
	v_cvt_f32_i32_e32 v186, v186                               // 000000005C98: 7F740BBA
	v_cvt_f32_i32_e32 v187, v187                               // 000000005C9C: 7F760BBB
	v_mul_f32_e32 v184, v24, v184                              // 000000005CA0: 0B717118
	v_mul_f32_e32 v185, v24, v185                              // 000000005CA4: 0B737318
	v_mul_f32_e32 v186, v24, v186                              // 000000005CA8: 0B757518
	v_mul_f32_e32 v187, v24, v187                              // 000000005CAC: 0B777718
	v_mul_f32_dpp v184, v12, v184 row_newbcast:0 row_mask:0xf bank_mask:0xf// 000000005CB0: 0B7170FA FF01500C
	v_mul_f32_dpp v185, v12, v185 row_newbcast:1 row_mask:0xf bank_mask:0xf// 000000005CB8: 0B7372FA FF01510C
	v_mul_f32_dpp v186, v12, v186 row_newbcast:2 row_mask:0xf bank_mask:0xf// 000000005CC0: 0B7574FA FF01520C
	v_mul_f32_dpp v187, v12, v187 row_newbcast:3 row_mask:0xf bank_mask:0xf// 000000005CC8: 0B7776FA FF01530C
	v_mul_f32_e32 v184, v20, v184                              // 000000005CD0: 0B717114
	v_mul_f32_e32 v185, v20, v185                              // 000000005CD4: 0B737314
	v_mul_f32_e32 v186, v20, v186                              // 000000005CD8: 0B757514
	v_mul_f32_e32 v187, v20, v187                              // 000000005CDC: 0B777714
	v_cvt_f32_i32_e32 v188, v188                               // 000000005CE0: 7F780BBC
	v_cvt_f32_i32_e32 v189, v189                               // 000000005CE4: 7F7A0BBD
	v_cvt_f32_i32_e32 v190, v190                               // 000000005CE8: 7F7C0BBE
	v_cvt_f32_i32_e32 v191, v191                               // 000000005CEC: 7F7E0BBF
	v_mul_f32_e32 v188, v25, v188                              // 000000005CF0: 0B797919
	v_mul_f32_e32 v189, v25, v189                              // 000000005CF4: 0B7B7B19
	v_mul_f32_e32 v190, v25, v190                              // 000000005CF8: 0B7D7D19
	v_mul_f32_e32 v191, v25, v191                              // 000000005CFC: 0B7F7F19
	v_mul_f32_dpp v188, v12, v188 row_newbcast:0 row_mask:0xf bank_mask:0xf// 000000005D00: 0B7978FA FF01500C
	v_mul_f32_dpp v189, v12, v189 row_newbcast:1 row_mask:0xf bank_mask:0xf// 000000005D08: 0B7B7AFA FF01510C
	v_mul_f32_dpp v190, v12, v190 row_newbcast:2 row_mask:0xf bank_mask:0xf// 000000005D10: 0B7D7CFA FF01520C
	v_mul_f32_dpp v191, v12, v191 row_newbcast:3 row_mask:0xf bank_mask:0xf// 000000005D18: 0B7F7EFA FF01530C
	v_mul_f32_e32 v188, v21, v188                              // 000000005D20: 0B797915
	v_mul_f32_e32 v189, v21, v189                              // 000000005D24: 0B7B7B15
	v_mul_f32_e32 v190, v21, v190                              // 000000005D28: 0B7D7D15
	v_mul_f32_e32 v191, v21, v191                              // 000000005D2C: 0B7F7F15
	v_cvt_f32_i32_e32 v192, v192                               // 000000005D30: 7F800BC0
	v_cvt_f32_i32_e32 v193, v193                               // 000000005D34: 7F820BC1
	v_cvt_f32_i32_e32 v194, v194                               // 000000005D38: 7F840BC2
	v_cvt_f32_i32_e32 v195, v195                               // 000000005D3C: 7F860BC3
	v_mul_f32_e32 v192, v24, v192                              // 000000005D40: 0B818118
	v_mul_f32_e32 v193, v24, v193                              // 000000005D44: 0B838318
	v_mul_f32_e32 v194, v24, v194                              // 000000005D48: 0B858518
	v_mul_f32_e32 v195, v24, v195                              // 000000005D4C: 0B878718
	v_mul_f32_dpp v192, v12, v192 row_newbcast:4 row_mask:0xf bank_mask:0xf// 000000005D50: 0B8180FA FF01540C
	v_mul_f32_dpp v193, v12, v193 row_newbcast:5 row_mask:0xf bank_mask:0xf// 000000005D58: 0B8382FA FF01550C
	v_mul_f32_dpp v194, v12, v194 row_newbcast:6 row_mask:0xf bank_mask:0xf// 000000005D60: 0B8584FA FF01560C
	v_mul_f32_dpp v195, v12, v195 row_newbcast:7 row_mask:0xf bank_mask:0xf// 000000005D68: 0B8786FA FF01570C
	v_mul_f32_e32 v192, v20, v192                              // 000000005D70: 0B818114
	v_mul_f32_e32 v193, v20, v193                              // 000000005D74: 0B838314
	v_mul_f32_e32 v194, v20, v194                              // 000000005D78: 0B858514
	v_mul_f32_e32 v195, v20, v195                              // 000000005D7C: 0B878714
	v_cvt_f32_i32_e32 v196, v196                               // 000000005D80: 7F880BC4
	v_cvt_f32_i32_e32 v197, v197                               // 000000005D84: 7F8A0BC5
	v_cvt_f32_i32_e32 v198, v198                               // 000000005D88: 7F8C0BC6
	v_cvt_f32_i32_e32 v199, v199                               // 000000005D8C: 7F8E0BC7
	v_mul_f32_e32 v196, v25, v196                              // 000000005D90: 0B898919
	v_mul_f32_e32 v197, v25, v197                              // 000000005D94: 0B8B8B19
	v_mul_f32_e32 v198, v25, v198                              // 000000005D98: 0B8D8D19
	v_mul_f32_e32 v199, v25, v199                              // 000000005D9C: 0B8F8F19
	v_mul_f32_dpp v196, v12, v196 row_newbcast:4 row_mask:0xf bank_mask:0xf// 000000005DA0: 0B8988FA FF01540C
	v_mul_f32_dpp v197, v12, v197 row_newbcast:5 row_mask:0xf bank_mask:0xf// 000000005DA8: 0B8B8AFA FF01550C
	v_mul_f32_dpp v198, v12, v198 row_newbcast:6 row_mask:0xf bank_mask:0xf// 000000005DB0: 0B8D8CFA FF01560C
	v_mul_f32_dpp v199, v12, v199 row_newbcast:7 row_mask:0xf bank_mask:0xf// 000000005DB8: 0B8F8EFA FF01570C
	v_mul_f32_e32 v196, v21, v196                              // 000000005DC0: 0B898915
	v_mul_f32_e32 v197, v21, v197                              // 000000005DC4: 0B8B8B15
	v_mul_f32_e32 v198, v21, v198                              // 000000005DC8: 0B8D8D15
	v_mul_f32_e32 v199, v21, v199                              // 000000005DCC: 0B8F8F15
	v_cvt_f32_i32_e32 v200, v200                               // 000000005DD0: 7F900BC8
	v_cvt_f32_i32_e32 v201, v201                               // 000000005DD4: 7F920BC9
	v_cvt_f32_i32_e32 v202, v202                               // 000000005DD8: 7F940BCA
	v_cvt_f32_i32_e32 v203, v203                               // 000000005DDC: 7F960BCB
	v_mul_f32_e32 v200, v24, v200                              // 000000005DE0: 0B919118
	v_mul_f32_e32 v201, v24, v201                              // 000000005DE4: 0B939318
	v_mul_f32_e32 v202, v24, v202                              // 000000005DE8: 0B959518
	v_mul_f32_e32 v203, v24, v203                              // 000000005DEC: 0B979718
	v_mul_f32_dpp v200, v12, v200 row_newbcast:8 row_mask:0xf bank_mask:0xf// 000000005DF0: 0B9190FA FF01580C
	v_mul_f32_dpp v201, v12, v201 row_newbcast:9 row_mask:0xf bank_mask:0xf// 000000005DF8: 0B9392FA FF01590C
	v_mul_f32_dpp v202, v12, v202 row_newbcast:10 row_mask:0xf bank_mask:0xf// 000000005E00: 0B9594FA FF015A0C
	v_mul_f32_dpp v203, v12, v203 row_newbcast:11 row_mask:0xf bank_mask:0xf// 000000005E08: 0B9796FA FF015B0C
	v_mul_f32_e32 v200, v20, v200                              // 000000005E10: 0B919114
	v_mul_f32_e32 v201, v20, v201                              // 000000005E14: 0B939314
	v_mul_f32_e32 v202, v20, v202                              // 000000005E18: 0B959514
	v_mul_f32_e32 v203, v20, v203                              // 000000005E1C: 0B979714
	v_cvt_f32_i32_e32 v204, v204                               // 000000005E20: 7F980BCC
	v_cvt_f32_i32_e32 v205, v205                               // 000000005E24: 7F9A0BCD
	v_cvt_f32_i32_e32 v206, v206                               // 000000005E28: 7F9C0BCE
	v_cvt_f32_i32_e32 v207, v207                               // 000000005E2C: 7F9E0BCF
	v_mul_f32_e32 v204, v25, v204                              // 000000005E30: 0B999919
	v_mul_f32_e32 v205, v25, v205                              // 000000005E34: 0B9B9B19
	v_mul_f32_e32 v206, v25, v206                              // 000000005E38: 0B9D9D19
	v_mul_f32_e32 v207, v25, v207                              // 000000005E3C: 0B9F9F19
	v_mul_f32_dpp v204, v12, v204 row_newbcast:8 row_mask:0xf bank_mask:0xf// 000000005E40: 0B9998FA FF01580C
	v_mul_f32_dpp v205, v12, v205 row_newbcast:9 row_mask:0xf bank_mask:0xf// 000000005E48: 0B9B9AFA FF01590C
	v_mul_f32_dpp v206, v12, v206 row_newbcast:10 row_mask:0xf bank_mask:0xf// 000000005E50: 0B9D9CFA FF015A0C
	v_mul_f32_dpp v207, v12, v207 row_newbcast:11 row_mask:0xf bank_mask:0xf// 000000005E58: 0B9F9EFA FF015B0C
	v_mul_f32_e32 v204, v21, v204                              // 000000005E60: 0B999915
	v_mul_f32_e32 v205, v21, v205                              // 000000005E64: 0B9B9B15
	v_mul_f32_e32 v206, v21, v206                              // 000000005E68: 0B9D9D15
	v_mul_f32_e32 v207, v21, v207                              // 000000005E6C: 0B9F9F15
	v_cvt_f32_i32_e32 v208, v208                               // 000000005E70: 7FA00BD0
	v_cvt_f32_i32_e32 v209, v209                               // 000000005E74: 7FA20BD1
	v_cvt_f32_i32_e32 v210, v210                               // 000000005E78: 7FA40BD2
	v_cvt_f32_i32_e32 v211, v211                               // 000000005E7C: 7FA60BD3
	v_mul_f32_e32 v208, v24, v208                              // 000000005E80: 0BA1A118
	v_mul_f32_e32 v209, v24, v209                              // 000000005E84: 0BA3A318
	v_mul_f32_e32 v210, v24, v210                              // 000000005E88: 0BA5A518
	v_mul_f32_e32 v211, v24, v211                              // 000000005E8C: 0BA7A718
	v_mul_f32_dpp v208, v12, v208 row_newbcast:12 row_mask:0xf bank_mask:0xf// 000000005E90: 0BA1A0FA FF015C0C
	v_mul_f32_dpp v209, v12, v209 row_newbcast:13 row_mask:0xf bank_mask:0xf// 000000005E98: 0BA3A2FA FF015D0C
	v_mul_f32_dpp v210, v12, v210 row_newbcast:14 row_mask:0xf bank_mask:0xf// 000000005EA0: 0BA5A4FA FF015E0C
	v_mul_f32_dpp v211, v12, v211 row_newbcast:15 row_mask:0xf bank_mask:0xf// 000000005EA8: 0BA7A6FA FF015F0C
	v_mul_f32_e32 v208, v20, v208                              // 000000005EB0: 0BA1A114
	v_mul_f32_e32 v209, v20, v209                              // 000000005EB4: 0BA3A314
	v_mul_f32_e32 v210, v20, v210                              // 000000005EB8: 0BA5A514
	v_mul_f32_e32 v211, v20, v211                              // 000000005EBC: 0BA7A714
	v_cvt_f32_i32_e32 v212, v212                               // 000000005EC0: 7FA80BD4
	v_cvt_f32_i32_e32 v213, v213                               // 000000005EC4: 7FAA0BD5
	v_cvt_f32_i32_e32 v214, v214                               // 000000005EC8: 7FAC0BD6
	v_cvt_f32_i32_e32 v215, v215                               // 000000005ECC: 7FAE0BD7
	v_mul_f32_e32 v212, v25, v212                              // 000000005ED0: 0BA9A919
	v_mul_f32_e32 v213, v25, v213                              // 000000005ED4: 0BABAB19
	v_mul_f32_e32 v214, v25, v214                              // 000000005ED8: 0BADAD19
	v_mul_f32_e32 v215, v25, v215                              // 000000005EDC: 0BAFAF19
	v_mul_f32_dpp v212, v12, v212 row_newbcast:12 row_mask:0xf bank_mask:0xf// 000000005EE0: 0BA9A8FA FF015C0C
	v_mul_f32_dpp v213, v12, v213 row_newbcast:13 row_mask:0xf bank_mask:0xf// 000000005EE8: 0BABAAFA FF015D0C
	v_mul_f32_dpp v214, v12, v214 row_newbcast:14 row_mask:0xf bank_mask:0xf// 000000005EF0: 0BADACFA FF015E0C
	v_mul_f32_dpp v215, v12, v215 row_newbcast:15 row_mask:0xf bank_mask:0xf// 000000005EF8: 0BAFAEFA FF015F0C
	v_mul_f32_e32 v212, v21, v212                              // 000000005F00: 0BA9A915
	v_mul_f32_e32 v213, v21, v213                              // 000000005F04: 0BABAB15
	v_mul_f32_e32 v214, v21, v214                              // 000000005F08: 0BADAD15
	v_mul_f32_e32 v215, v21, v215                              // 000000005F0C: 0BAFAF15
	v_cmp_u_f32_e64 s[48:49], v184, v184                       // 000000005F10: D0480030 000371B8
	v_add3_u32 v45, v184, v48, 1                               // 000000005F18: D1FF002D 020661B8
	v_cndmask_b32_e64 v50, v45, v47, s[48:49]                  // 000000005F20: D1000032 00C25F2D
	v_cmp_u_f32_e64 s[48:49], v185, v185                       // 000000005F28: D0480030 000373B9
	v_add3_u32 v45, v185, v48, 1                               // 000000005F30: D1FF002D 020661B9
	v_cndmask_b32_e64 v51, v45, v47, s[48:49]                  // 000000005F38: D1000033 00C25F2D
	v_perm_b32 v184, v51, v50, s52                             // 000000005F40: D1ED00B8 00D26533
	v_cmp_u_f32_e64 s[48:49], v186, v186                       // 000000005F48: D0480030 000375BA
	v_add3_u32 v45, v186, v48, 1                               // 000000005F50: D1FF002D 020661BA
	v_cndmask_b32_e64 v50, v45, v47, s[48:49]                  // 000000005F58: D1000032 00C25F2D
	v_cmp_u_f32_e64 s[48:49], v187, v187                       // 000000005F60: D0480030 000377BB
	v_add3_u32 v45, v187, v48, 1                               // 000000005F68: D1FF002D 020661BB
	v_cndmask_b32_e64 v51, v45, v47, s[48:49]                  // 000000005F70: D1000033 00C25F2D
	v_perm_b32 v185, v51, v50, s52                             // 000000005F78: D1ED00B9 00D26533
	v_cmp_u_f32_e64 s[48:49], v188, v188                       // 000000005F80: D0480030 000379BC
	v_add3_u32 v45, v188, v48, 1                               // 000000005F88: D1FF002D 020661BC
	v_cndmask_b32_e64 v50, v45, v47, s[48:49]                  // 000000005F90: D1000032 00C25F2D
	v_cmp_u_f32_e64 s[48:49], v189, v189                       // 000000005F98: D0480030 00037BBD
	v_add3_u32 v45, v189, v48, 1                               // 000000005FA0: D1FF002D 020661BD
	v_cndmask_b32_e64 v51, v45, v47, s[48:49]                  // 000000005FA8: D1000033 00C25F2D
	v_perm_b32 v186, v51, v50, s52                             // 000000005FB0: D1ED00BA 00D26533
	v_cmp_u_f32_e64 s[48:49], v190, v190                       // 000000005FB8: D0480030 00037DBE
	v_add3_u32 v45, v190, v48, 1                               // 000000005FC0: D1FF002D 020661BE
	v_cndmask_b32_e64 v50, v45, v47, s[48:49]                  // 000000005FC8: D1000032 00C25F2D
	v_cmp_u_f32_e64 s[48:49], v191, v191                       // 000000005FD0: D0480030 00037FBF
	v_add3_u32 v45, v191, v48, 1                               // 000000005FD8: D1FF002D 020661BF
	v_cndmask_b32_e64 v51, v45, v47, s[48:49]                  // 000000005FE0: D1000033 00C25F2D
	v_perm_b32 v187, v51, v50, s52                             // 000000005FE8: D1ED00BB 00D26533
	v_cmp_u_f32_e64 s[48:49], v192, v192                       // 000000005FF0: D0480030 000381C0
	v_add3_u32 v45, v192, v48, 1                               // 000000005FF8: D1FF002D 020661C0
	v_cndmask_b32_e64 v50, v45, v47, s[48:49]                  // 000000006000: D1000032 00C25F2D
	v_cmp_u_f32_e64 s[48:49], v193, v193                       // 000000006008: D0480030 000383C1
	v_add3_u32 v45, v193, v48, 1                               // 000000006010: D1FF002D 020661C1
	v_cndmask_b32_e64 v51, v45, v47, s[48:49]                  // 000000006018: D1000033 00C25F2D
	v_perm_b32 v188, v51, v50, s52                             // 000000006020: D1ED00BC 00D26533
	v_cmp_u_f32_e64 s[48:49], v194, v194                       // 000000006028: D0480030 000385C2
	v_add3_u32 v45, v194, v48, 1                               // 000000006030: D1FF002D 020661C2
	v_cndmask_b32_e64 v50, v45, v47, s[48:49]                  // 000000006038: D1000032 00C25F2D
	v_cmp_u_f32_e64 s[48:49], v195, v195                       // 000000006040: D0480030 000387C3
	v_add3_u32 v45, v195, v48, 1                               // 000000006048: D1FF002D 020661C3
	v_cndmask_b32_e64 v51, v45, v47, s[48:49]                  // 000000006050: D1000033 00C25F2D
	v_perm_b32 v189, v51, v50, s52                             // 000000006058: D1ED00BD 00D26533
	v_cmp_u_f32_e64 s[48:49], v196, v196                       // 000000006060: D0480030 000389C4
	v_add3_u32 v45, v196, v48, 1                               // 000000006068: D1FF002D 020661C4
	v_cndmask_b32_e64 v50, v45, v47, s[48:49]                  // 000000006070: D1000032 00C25F2D
	v_cmp_u_f32_e64 s[48:49], v197, v197                       // 000000006078: D0480030 00038BC5
	v_add3_u32 v45, v197, v48, 1                               // 000000006080: D1FF002D 020661C5
	v_cndmask_b32_e64 v51, v45, v47, s[48:49]                  // 000000006088: D1000033 00C25F2D
	v_perm_b32 v190, v51, v50, s52                             // 000000006090: D1ED00BE 00D26533
	v_cmp_u_f32_e64 s[48:49], v198, v198                       // 000000006098: D0480030 00038DC6
	v_add3_u32 v45, v198, v48, 1                               // 0000000060A0: D1FF002D 020661C6
	v_cndmask_b32_e64 v50, v45, v47, s[48:49]                  // 0000000060A8: D1000032 00C25F2D
	v_cmp_u_f32_e64 s[48:49], v199, v199                       // 0000000060B0: D0480030 00038FC7
	v_add3_u32 v45, v199, v48, 1                               // 0000000060B8: D1FF002D 020661C7
	v_cndmask_b32_e64 v51, v45, v47, s[48:49]                  // 0000000060C0: D1000033 00C25F2D
	v_perm_b32 v191, v51, v50, s52                             // 0000000060C8: D1ED00BF 00D26533
	v_cmp_u_f32_e64 s[48:49], v200, v200                       // 0000000060D0: D0480030 000391C8
	v_add3_u32 v45, v200, v48, 1                               // 0000000060D8: D1FF002D 020661C8
	v_cndmask_b32_e64 v50, v45, v47, s[48:49]                  // 0000000060E0: D1000032 00C25F2D
	v_cmp_u_f32_e64 s[48:49], v201, v201                       // 0000000060E8: D0480030 000393C9
	v_add3_u32 v45, v201, v48, 1                               // 0000000060F0: D1FF002D 020661C9
	v_cndmask_b32_e64 v51, v45, v47, s[48:49]                  // 0000000060F8: D1000033 00C25F2D
	v_perm_b32 v192, v51, v50, s52                             // 000000006100: D1ED00C0 00D26533
	v_cmp_u_f32_e64 s[48:49], v202, v202                       // 000000006108: D0480030 000395CA
	v_add3_u32 v45, v202, v48, 1                               // 000000006110: D1FF002D 020661CA
	v_cndmask_b32_e64 v50, v45, v47, s[48:49]                  // 000000006118: D1000032 00C25F2D
	v_cmp_u_f32_e64 s[48:49], v203, v203                       // 000000006120: D0480030 000397CB
	v_add3_u32 v45, v203, v48, 1                               // 000000006128: D1FF002D 020661CB
	v_cndmask_b32_e64 v51, v45, v47, s[48:49]                  // 000000006130: D1000033 00C25F2D
	v_perm_b32 v193, v51, v50, s52                             // 000000006138: D1ED00C1 00D26533
	v_cmp_u_f32_e64 s[48:49], v204, v204                       // 000000006140: D0480030 000399CC
	v_add3_u32 v45, v204, v48, 1                               // 000000006148: D1FF002D 020661CC
	v_cndmask_b32_e64 v50, v45, v47, s[48:49]                  // 000000006150: D1000032 00C25F2D
	v_cmp_u_f32_e64 s[48:49], v205, v205                       // 000000006158: D0480030 00039BCD
	v_add3_u32 v45, v205, v48, 1                               // 000000006160: D1FF002D 020661CD
	v_cndmask_b32_e64 v51, v45, v47, s[48:49]                  // 000000006168: D1000033 00C25F2D
	v_perm_b32 v194, v51, v50, s52                             // 000000006170: D1ED00C2 00D26533
	v_cmp_u_f32_e64 s[48:49], v206, v206                       // 000000006178: D0480030 00039DCE
	v_add3_u32 v45, v206, v48, 1                               // 000000006180: D1FF002D 020661CE
	v_cndmask_b32_e64 v50, v45, v47, s[48:49]                  // 000000006188: D1000032 00C25F2D
	v_cmp_u_f32_e64 s[48:49], v207, v207                       // 000000006190: D0480030 00039FCF
	v_add3_u32 v45, v207, v48, 1                               // 000000006198: D1FF002D 020661CF
	v_cndmask_b32_e64 v51, v45, v47, s[48:49]                  // 0000000061A0: D1000033 00C25F2D
	v_perm_b32 v195, v51, v50, s52                             // 0000000061A8: D1ED00C3 00D26533
	v_cmp_u_f32_e64 s[48:49], v208, v208                       // 0000000061B0: D0480030 0003A1D0
	v_add3_u32 v45, v208, v48, 1                               // 0000000061B8: D1FF002D 020661D0
	v_cndmask_b32_e64 v50, v45, v47, s[48:49]                  // 0000000061C0: D1000032 00C25F2D
	v_cmp_u_f32_e64 s[48:49], v209, v209                       // 0000000061C8: D0480030 0003A3D1
	v_add3_u32 v45, v209, v48, 1                               // 0000000061D0: D1FF002D 020661D1
	v_cndmask_b32_e64 v51, v45, v47, s[48:49]                  // 0000000061D8: D1000033 00C25F2D
	v_perm_b32 v196, v51, v50, s52                             // 0000000061E0: D1ED00C4 00D26533
	v_cmp_u_f32_e64 s[48:49], v210, v210                       // 0000000061E8: D0480030 0003A5D2
	v_add3_u32 v45, v210, v48, 1                               // 0000000061F0: D1FF002D 020661D2
	v_cndmask_b32_e64 v50, v45, v47, s[48:49]                  // 0000000061F8: D1000032 00C25F2D
	v_cmp_u_f32_e64 s[48:49], v211, v211                       // 000000006200: D0480030 0003A7D3
	v_add3_u32 v45, v211, v48, 1                               // 000000006208: D1FF002D 020661D3
	v_cndmask_b32_e64 v51, v45, v47, s[48:49]                  // 000000006210: D1000033 00C25F2D
	v_perm_b32 v197, v51, v50, s52                             // 000000006218: D1ED00C5 00D26533
	v_cmp_u_f32_e64 s[48:49], v212, v212                       // 000000006220: D0480030 0003A9D4
	v_add3_u32 v45, v212, v48, 1                               // 000000006228: D1FF002D 020661D4
	v_cndmask_b32_e64 v50, v45, v47, s[48:49]                  // 000000006230: D1000032 00C25F2D
	v_cmp_u_f32_e64 s[48:49], v213, v213                       // 000000006238: D0480030 0003ABD5
	v_add3_u32 v45, v213, v48, 1                               // 000000006240: D1FF002D 020661D5
	v_cndmask_b32_e64 v51, v45, v47, s[48:49]                  // 000000006248: D1000033 00C25F2D
	v_perm_b32 v198, v51, v50, s52                             // 000000006250: D1ED00C6 00D26533
	v_cmp_u_f32_e64 s[48:49], v214, v214                       // 000000006258: D0480030 0003ADD6
	v_add3_u32 v45, v214, v48, 1                               // 000000006260: D1FF002D 020661D6
	v_cndmask_b32_e64 v50, v45, v47, s[48:49]                  // 000000006268: D1000032 00C25F2D
	v_cmp_u_f32_e64 s[48:49], v215, v215                       // 000000006270: D0480030 0003AFD7
	v_add3_u32 v45, v215, v48, 1                               // 000000006278: D1FF002D 020661D7
	v_cndmask_b32_e64 v51, v45, v47, s[48:49]                  // 000000006280: D1000033 00C25F2D
	v_perm_b32 v199, v51, v50, s52                             // 000000006288: D1ED00C7 00D26533
	ds_write_b64 v3, v[184:185] offset:33024                   // 000000006290: D89A8100 0000B803
	ds_write_b64 v3, v[186:187] offset:41728                   // 000000006298: D89AA300 0000BA03
	ds_write_b64 v3, v[188:189] offset:35200                   // 0000000062A0: D89A8980 0000BC03
	ds_write_b64 v3, v[190:191] offset:43904                   // 0000000062A8: D89AAB80 0000BE03
	ds_write_b64 v3, v[192:193] offset:37376                   // 0000000062B0: D89A9200 0000C003
	ds_write_b64 v3, v[194:195] offset:46080                   // 0000000062B8: D89AB400 0000C203
	ds_write_b64 v3, v[196:197] offset:39552                   // 0000000062C0: D89A9A80 0000C403
	ds_write_b64 v3, v[198:199] offset:48256                   // 0000000062C8: D89ABC80 0000C603
	s_waitcnt lgkmcnt(0)                                       // 0000000062D0: BF8CC07F
	s_barrier                                                  // 0000000062D4: BF8A0000
	ds_read_b32 v64, v4 offset:33024                           // 0000000062D8: D86C8100 40000004
	ds_read_b32 v65, v4 offset:37376                           // 0000000062E0: D86C9200 41000004
	ds_read_b32 v66, v4 offset:33056                           // 0000000062E8: D86C8120 42000004
	ds_read_b32 v67, v4 offset:37408                           // 0000000062F0: D86C9220 43000004
	ds_read_b32 v68, v4 offset:33088                           // 0000000062F8: D86C8140 44000004
	ds_read_b32 v69, v4 offset:37440                           // 000000006300: D86C9240 45000004
	ds_read_b32 v70, v4 offset:33120                           // 000000006308: D86C8160 46000004
	ds_read_b32 v71, v4 offset:37472                           // 000000006310: D86C9260 47000004
	ds_read_b32 v72, v4 offset:41728                           // 000000006318: D86CA300 48000004
	ds_read_b32 v73, v4 offset:46080                           // 000000006320: D86CB400 49000004
	ds_read_b32 v74, v4 offset:41760                           // 000000006328: D86CA320 4A000004
	ds_read_b32 v75, v4 offset:46112                           // 000000006330: D86CB420 4B000004
	ds_read_b32 v76, v4 offset:41792                           // 000000006338: D86CA340 4C000004
	ds_read_b32 v77, v4 offset:46144                           // 000000006340: D86CB440 4D000004
	ds_read_b32 v78, v4 offset:41824                           // 000000006348: D86CA360 4E000004
	ds_read_b32 v79, v4 offset:46176                           // 000000006350: D86CB460 4F000004
	s_waitcnt lgkmcnt(0)                                       // 000000006358: BF8CC07F
	s_mov_b64 exec, s[20:21]                                   // 00000000635C: BEFE0114
	global_atomic_pk_add_bf16 v80, v64, s[8:9]                 // 000000006360: DD488000 00084050
	s_mov_b64 exec, s[36:37]                                   // 000000006368: BEFE0124
	s_mov_b64 exec, s[20:21]                                   // 00000000636C: BEFE0114
	global_atomic_pk_add_bf16 v80, v65, s[8:9] offset:256      // 000000006370: DD488100 00084150
	s_mov_b64 exec, s[36:37]                                   // 000000006378: BEFE0124
	s_mov_b64 exec, s[22:23]                                   // 00000000637C: BEFE0116
	global_atomic_pk_add_bf16 v82, v66, s[8:9]                 // 000000006380: DD488000 00084252
	s_mov_b64 exec, s[36:37]                                   // 000000006388: BEFE0124
	s_mov_b64 exec, s[22:23]                                   // 00000000638C: BEFE0116
	global_atomic_pk_add_bf16 v82, v67, s[8:9] offset:256      // 000000006390: DD488100 00084352
	s_mov_b64 exec, s[36:37]                                   // 000000006398: BEFE0124
	s_mov_b64 exec, s[24:25]                                   // 00000000639C: BEFE0118
	global_atomic_pk_add_bf16 v84, v68, s[8:9]                 // 0000000063A0: DD488000 00084454
	s_mov_b64 exec, s[36:37]                                   // 0000000063A8: BEFE0124
	s_mov_b64 exec, s[24:25]                                   // 0000000063AC: BEFE0118
	global_atomic_pk_add_bf16 v84, v69, s[8:9] offset:256      // 0000000063B0: DD488100 00084554
	s_mov_b64 exec, s[36:37]                                   // 0000000063B8: BEFE0124
	s_mov_b64 exec, s[26:27]                                   // 0000000063BC: BEFE011A
	global_atomic_pk_add_bf16 v86, v70, s[8:9]                 // 0000000063C0: DD488000 00084656
	s_mov_b64 exec, s[36:37]                                   // 0000000063C8: BEFE0124
	s_mov_b64 exec, s[26:27]                                   // 0000000063CC: BEFE011A
	global_atomic_pk_add_bf16 v86, v71, s[8:9] offset:256      // 0000000063D0: DD488100 00084756
	s_mov_b64 exec, s[36:37]                                   // 0000000063D8: BEFE0124
	s_mov_b64 exec, s[28:29]                                   // 0000000063DC: BEFE011C
	global_atomic_pk_add_bf16 v88, v72, s[8:9]                 // 0000000063E0: DD488000 00084858
	s_mov_b64 exec, s[36:37]                                   // 0000000063E8: BEFE0124
	s_mov_b64 exec, s[28:29]                                   // 0000000063EC: BEFE011C
	global_atomic_pk_add_bf16 v88, v73, s[8:9] offset:256      // 0000000063F0: DD488100 00084958
	s_mov_b64 exec, s[36:37]                                   // 0000000063F8: BEFE0124
	s_mov_b64 exec, s[30:31]                                   // 0000000063FC: BEFE011E
	global_atomic_pk_add_bf16 v90, v74, s[8:9]                 // 000000006400: DD488000 00084A5A
	s_mov_b64 exec, s[36:37]                                   // 000000006408: BEFE0124
	s_mov_b64 exec, s[30:31]                                   // 00000000640C: BEFE011E
	global_atomic_pk_add_bf16 v90, v75, s[8:9] offset:256      // 000000006410: DD488100 00084B5A
	s_mov_b64 exec, s[36:37]                                   // 000000006418: BEFE0124
	s_mov_b64 exec, s[32:33]                                   // 00000000641C: BEFE0120
	global_atomic_pk_add_bf16 v92, v76, s[8:9]                 // 000000006420: DD488000 00084C5C
	s_mov_b64 exec, s[36:37]                                   // 000000006428: BEFE0124
	s_mov_b64 exec, s[32:33]                                   // 00000000642C: BEFE0120
	global_atomic_pk_add_bf16 v92, v77, s[8:9] offset:256      // 000000006430: DD488100 00084D5C
	s_mov_b64 exec, s[36:37]                                   // 000000006438: BEFE0124
	s_mov_b64 exec, s[34:35]                                   // 00000000643C: BEFE0122
	global_atomic_pk_add_bf16 v94, v78, s[8:9]                 // 000000006440: DD488000 00084E5E
	s_mov_b64 exec, s[36:37]                                   // 000000006448: BEFE0124
	s_mov_b64 exec, s[34:35]                                   // 00000000644C: BEFE0122
	global_atomic_pk_add_bf16 v94, v79, s[8:9] offset:256      // 000000006450: DD488100 00084F5E
	s_mov_b64 exec, s[36:37]                                   // 000000006458: BEFE0124
	s_add_u32 s8, s59, s8                                      // 00000000645C: 8008083B
	s_addc_u32 s9, 0, s9                                       // 000000006460: 82090980
	s_addk_i32 s80, 0x100                                      // 000000006464: B7500100
	s_cmp_lt_i32 s80, s81                                      // 000000006468: BF045150
	s_cbranch_scc0 label_118D                                  // 00000000646C: BF840331
	s_waitcnt vmcnt(41)                                        // 000000006470: BF8C8F79
	s_barrier                                                  // 000000006474: BF8A0000
	v_mfma_i32_16x16x32_i8 v[216:219], a[112:113], v[128:129], 0// 000000006478: D3D700D8 0A030170
	v_mfma_i32_16x16x32_i8 v[216:219], a[114:115], v[130:131], v[216:219]// 000000006480: D3D700D8 0F630572
	buffer_load_dwordx4 a[0:3], v41, s[12:15], 0 offen         // 000000006488: E05C1000 80830029
	v_mfma_i32_16x16x32_i8 v[220:223], a[112:113], v[156:157], 0// 000000006490: D3D700DC 0A033970
	v_mfma_i32_16x16x32_i8 v[220:223], a[114:115], v[158:159], v[220:223]// 000000006498: D3D700DC 0F733D72
	v_mfma_i32_16x16x32_i8 v[224:227], a[116:117], v[128:129], 0// 0000000064A0: D3D700E0 0A030174
	v_mfma_i32_16x16x32_i8 v[224:227], a[118:119], v[130:131], v[224:227]// 0000000064A8: D3D700E0 0F830576
	buffer_load_dwordx4 a[4:7], v42, s[12:15], 0 offen         // 0000000064B0: E05C1000 8083042A
	v_mfma_i32_16x16x32_i8 v[228:231], a[116:117], v[156:157], 0// 0000000064B8: D3D700E4 0A033974
	v_mfma_i32_16x16x32_i8 v[228:231], a[118:119], v[158:159], v[228:231]// 0000000064C0: D3D700E4 0F933D76
	v_mfma_i32_16x16x32_i8 v[232:235], a[120:121], v[128:129], 0// 0000000064C8: D3D700E8 0A030178
	v_mfma_i32_16x16x32_i8 v[232:235], a[122:123], v[130:131], v[232:235]// 0000000064D0: D3D700E8 0FA3057A
	buffer_load_dwordx4 a[8:11], v43, s[12:15], 0 offen        // 0000000064D8: E05C1000 8083082B
	v_mfma_i32_16x16x32_i8 v[236:239], a[120:121], v[156:157], 0// 0000000064E0: D3D700EC 0A033978
	v_mfma_i32_16x16x32_i8 v[236:239], a[122:123], v[158:159], v[236:239]// 0000000064E8: D3D700EC 0FB33D7A
	v_mfma_i32_16x16x32_i8 v[240:243], a[124:125], v[128:129], 0// 0000000064F0: D3D700F0 0A03017C
	v_mfma_i32_16x16x32_i8 v[240:243], a[126:127], v[130:131], v[240:243]// 0000000064F8: D3D700F0 0FC3057E
	buffer_load_dwordx4 a[12:15], v44, s[12:15], 0 offen       // 000000006500: E05C1000 80830C2C
	s_add_u32 s12, s78, s12                                    // 000000006508: 800C0C4E
	s_addc_u32 s13, 0, s13                                     // 00000000650C: 820D0D80
	v_mfma_i32_16x16x32_i8 v[244:247], a[124:125], v[156:157], 0// 000000006510: D3D700F4 0A03397C
	v_mfma_i32_16x16x32_i8 v[244:247], a[126:127], v[158:159], v[244:247]// 000000006518: D3D700F4 0FD33D7E
	s_waitcnt vmcnt(41)                                        // 000000006520: BF8C8F79
	v_mfma_i32_16x16x32_i8 v[216:219], a[128:129], v[132:133], v[216:219]// 000000006524: D3D700D8 0F630980
	v_mfma_i32_16x16x32_i8 v[216:219], a[130:131], v[134:135], v[216:219]// 00000000652C: D3D700D8 0F630D82
	buffer_load_dwordx4 a[16:19], v41, s[12:15], 0 offen       // 000000006534: E05C1000 80831029
	v_mfma_i32_16x16x32_i8 v[220:223], a[128:129], v[160:161], v[220:223]// 00000000653C: D3D700DC 0F734180
	v_mfma_i32_16x16x32_i8 v[220:223], a[130:131], v[162:163], v[220:223]// 000000006544: D3D700DC 0F734582
	v_mfma_i32_16x16x32_i8 v[224:227], a[132:133], v[132:133], v[224:227]// 00000000654C: D3D700E0 0F830984
	v_mfma_i32_16x16x32_i8 v[224:227], a[134:135], v[134:135], v[224:227]// 000000006554: D3D700E0 0F830D86
	buffer_load_dwordx4 a[20:23], v42, s[12:15], 0 offen       // 00000000655C: E05C1000 8083142A
	v_mfma_i32_16x16x32_i8 v[228:231], a[132:133], v[160:161], v[228:231]// 000000006564: D3D700E4 0F934184
	v_mfma_i32_16x16x32_i8 v[228:231], a[134:135], v[162:163], v[228:231]// 00000000656C: D3D700E4 0F934586
	v_mfma_i32_16x16x32_i8 v[232:235], a[136:137], v[132:133], v[232:235]// 000000006574: D3D700E8 0FA30988
	v_mfma_i32_16x16x32_i8 v[232:235], a[138:139], v[134:135], v[232:235]// 00000000657C: D3D700E8 0FA30D8A
	buffer_load_dwordx4 a[24:27], v43, s[12:15], 0 offen       // 000000006584: E05C1000 8083182B
	v_mfma_i32_16x16x32_i8 v[236:239], a[136:137], v[160:161], v[236:239]// 00000000658C: D3D700EC 0FB34188
	v_mfma_i32_16x16x32_i8 v[236:239], a[138:139], v[162:163], v[236:239]// 000000006594: D3D700EC 0FB3458A
	v_mfma_i32_16x16x32_i8 v[240:243], a[140:141], v[132:133], v[240:243]// 00000000659C: D3D700F0 0FC3098C
	v_mfma_i32_16x16x32_i8 v[240:243], a[142:143], v[134:135], v[240:243]// 0000000065A4: D3D700F0 0FC30D8E
	buffer_load_dwordx4 a[28:31], v44, s[12:15], 0 offen       // 0000000065AC: E05C1000 80831C2C
	s_add_u32 s12, s78, s12                                    // 0000000065B4: 800C0C4E
	s_addc_u32 s13, 0, s13                                     // 0000000065B8: 820D0D80
	v_mfma_i32_16x16x32_i8 v[244:247], a[140:141], v[160:161], v[244:247]// 0000000065BC: D3D700F4 0FD3418C
	v_mfma_i32_16x16x32_i8 v[244:247], a[142:143], v[162:163], v[244:247]// 0000000065C4: D3D700F4 0FD3458E
	s_waitcnt vmcnt(41)                                        // 0000000065CC: BF8C8F79
	v_mfma_i32_16x16x32_i8 v[216:219], a[144:145], v[136:137], v[216:219]// 0000000065D0: D3D700D8 0F631190
	v_mfma_i32_16x16x32_i8 v[216:219], a[146:147], v[138:139], v[216:219]// 0000000065D8: D3D700D8 0F631592
	buffer_load_dwordx4 a[32:35], v41, s[12:15], 0 offen       // 0000000065E0: E05C1000 80832029
	v_mfma_i32_16x16x32_i8 v[220:223], a[144:145], v[164:165], v[220:223]// 0000000065E8: D3D700DC 0F734990
	v_mfma_i32_16x16x32_i8 v[220:223], a[146:147], v[166:167], v[220:223]// 0000000065F0: D3D700DC 0F734D92
	v_mfma_i32_16x16x32_i8 v[224:227], a[148:149], v[136:137], v[224:227]// 0000000065F8: D3D700E0 0F831194
	v_mfma_i32_16x16x32_i8 v[224:227], a[150:151], v[138:139], v[224:227]// 000000006600: D3D700E0 0F831596
	buffer_load_dwordx4 a[36:39], v42, s[12:15], 0 offen       // 000000006608: E05C1000 8083242A
	v_mfma_i32_16x16x32_i8 v[228:231], a[148:149], v[164:165], v[228:231]// 000000006610: D3D700E4 0F934994
	v_mfma_i32_16x16x32_i8 v[228:231], a[150:151], v[166:167], v[228:231]// 000000006618: D3D700E4 0F934D96
	v_mfma_i32_16x16x32_i8 v[232:235], a[152:153], v[136:137], v[232:235]// 000000006620: D3D700E8 0FA31198
	v_mfma_i32_16x16x32_i8 v[232:235], a[154:155], v[138:139], v[232:235]// 000000006628: D3D700E8 0FA3159A
	buffer_load_dwordx4 a[40:43], v43, s[12:15], 0 offen       // 000000006630: E05C1000 8083282B
	v_mfma_i32_16x16x32_i8 v[236:239], a[152:153], v[164:165], v[236:239]// 000000006638: D3D700EC 0FB34998
	v_mfma_i32_16x16x32_i8 v[236:239], a[154:155], v[166:167], v[236:239]// 000000006640: D3D700EC 0FB34D9A
	v_mfma_i32_16x16x32_i8 v[240:243], a[156:157], v[136:137], v[240:243]// 000000006648: D3D700F0 0FC3119C
	v_mfma_i32_16x16x32_i8 v[240:243], a[158:159], v[138:139], v[240:243]// 000000006650: D3D700F0 0FC3159E
	buffer_load_dwordx4 a[44:47], v44, s[12:15], 0 offen       // 000000006658: E05C1000 80832C2C
	s_add_u32 s12, s78, s12                                    // 000000006660: 800C0C4E
	s_addc_u32 s13, 0, s13                                     // 000000006664: 820D0D80
	v_mfma_i32_16x16x32_i8 v[244:247], a[156:157], v[164:165], v[244:247]// 000000006668: D3D700F4 0FD3499C
	v_mfma_i32_16x16x32_i8 v[244:247], a[158:159], v[166:167], v[244:247]// 000000006670: D3D700F4 0FD34D9E
	s_waitcnt vmcnt(41)                                        // 000000006678: BF8C8F79
	v_mfma_i32_16x16x32_i8 v[216:219], a[160:161], v[140:141], v[216:219]// 00000000667C: D3D700D8 0F6319A0
	v_mfma_i32_16x16x32_i8 v[216:219], a[162:163], v[142:143], v[216:219]// 000000006684: D3D700D8 0F631DA2
	buffer_load_dwordx4 a[48:51], v41, s[12:15], 0 offen       // 00000000668C: E05C1000 80833029
	v_mfma_i32_16x16x32_i8 v[220:223], a[160:161], v[168:169], v[220:223]// 000000006694: D3D700DC 0F7351A0
	v_mfma_i32_16x16x32_i8 v[220:223], a[162:163], v[170:171], v[220:223]// 00000000669C: D3D700DC 0F7355A2
	v_mfma_i32_16x16x32_i8 v[224:227], a[164:165], v[140:141], v[224:227]// 0000000066A4: D3D700E0 0F8319A4
	v_mfma_i32_16x16x32_i8 v[224:227], a[166:167], v[142:143], v[224:227]// 0000000066AC: D3D700E0 0F831DA6
	buffer_load_dwordx4 a[52:55], v42, s[12:15], 0 offen       // 0000000066B4: E05C1000 8083342A
	v_mfma_i32_16x16x32_i8 v[228:231], a[164:165], v[168:169], v[228:231]// 0000000066BC: D3D700E4 0F9351A4
	v_mfma_i32_16x16x32_i8 v[228:231], a[166:167], v[170:171], v[228:231]// 0000000066C4: D3D700E4 0F9355A6
	v_mfma_i32_16x16x32_i8 v[232:235], a[168:169], v[140:141], v[232:235]// 0000000066CC: D3D700E8 0FA319A8
	v_mfma_i32_16x16x32_i8 v[232:235], a[170:171], v[142:143], v[232:235]// 0000000066D4: D3D700E8 0FA31DAA
	buffer_load_dwordx4 a[56:59], v43, s[12:15], 0 offen       // 0000000066DC: E05C1000 8083382B
	v_mfma_i32_16x16x32_i8 v[236:239], a[168:169], v[168:169], v[236:239]// 0000000066E4: D3D700EC 0FB351A8
	v_mfma_i32_16x16x32_i8 v[236:239], a[170:171], v[170:171], v[236:239]// 0000000066EC: D3D700EC 0FB355AA
	v_mfma_i32_16x16x32_i8 v[240:243], a[172:173], v[140:141], v[240:243]// 0000000066F4: D3D700F0 0FC319AC
	v_mfma_i32_16x16x32_i8 v[240:243], a[174:175], v[142:143], v[240:243]// 0000000066FC: D3D700F0 0FC31DAE
	buffer_load_dwordx4 a[60:63], v44, s[12:15], 0 offen       // 000000006704: E05C1000 80833C2C
	s_add_u32 s12, s78, s12                                    // 00000000670C: 800C0C4E
	s_addc_u32 s13, 0, s13                                     // 000000006710: 820D0D80
	v_mfma_i32_16x16x32_i8 v[244:247], a[172:173], v[168:169], v[244:247]// 000000006714: D3D700F4 0FD351AC
	v_mfma_i32_16x16x32_i8 v[244:247], a[174:175], v[170:171], v[244:247]// 00000000671C: D3D700F4 0FD355AE
	s_waitcnt vmcnt(41)                                        // 000000006724: BF8C8F79
	v_mfma_i32_16x16x32_i8 v[216:219], a[176:177], v[144:145], v[216:219]// 000000006728: D3D700D8 0F6321B0
	v_mfma_i32_16x16x32_i8 v[216:219], a[178:179], v[146:147], v[216:219]// 000000006730: D3D700D8 0F6325B2
	buffer_load_dwordx4 a[64:67], v41, s[12:15], 0 offen       // 000000006738: E05C1000 80834029
	v_mfma_i32_16x16x32_i8 v[220:223], a[176:177], v[172:173], v[220:223]// 000000006740: D3D700DC 0F7359B0
	v_mfma_i32_16x16x32_i8 v[220:223], a[178:179], v[174:175], v[220:223]// 000000006748: D3D700DC 0F735DB2
	v_mfma_i32_16x16x32_i8 v[224:227], a[180:181], v[144:145], v[224:227]// 000000006750: D3D700E0 0F8321B4
	v_mfma_i32_16x16x32_i8 v[224:227], a[182:183], v[146:147], v[224:227]// 000000006758: D3D700E0 0F8325B6
	buffer_load_dwordx4 a[68:71], v42, s[12:15], 0 offen       // 000000006760: E05C1000 8083442A
	v_mfma_i32_16x16x32_i8 v[228:231], a[180:181], v[172:173], v[228:231]// 000000006768: D3D700E4 0F9359B4
	v_mfma_i32_16x16x32_i8 v[228:231], a[182:183], v[174:175], v[228:231]// 000000006770: D3D700E4 0F935DB6
	v_mfma_i32_16x16x32_i8 v[232:235], a[184:185], v[144:145], v[232:235]// 000000006778: D3D700E8 0FA321B8
	v_mfma_i32_16x16x32_i8 v[232:235], a[186:187], v[146:147], v[232:235]// 000000006780: D3D700E8 0FA325BA
	buffer_load_dwordx4 a[72:75], v43, s[12:15], 0 offen       // 000000006788: E05C1000 8083482B
	v_mfma_i32_16x16x32_i8 v[236:239], a[184:185], v[172:173], v[236:239]// 000000006790: D3D700EC 0FB359B8
	v_mfma_i32_16x16x32_i8 v[236:239], a[186:187], v[174:175], v[236:239]// 000000006798: D3D700EC 0FB35DBA
	v_mfma_i32_16x16x32_i8 v[240:243], a[188:189], v[144:145], v[240:243]// 0000000067A0: D3D700F0 0FC321BC
	v_mfma_i32_16x16x32_i8 v[240:243], a[190:191], v[146:147], v[240:243]// 0000000067A8: D3D700F0 0FC325BE
	buffer_load_dwordx4 a[76:79], v44, s[12:15], 0 offen       // 0000000067B0: E05C1000 80834C2C
	s_add_u32 s12, s78, s12                                    // 0000000067B8: 800C0C4E
	s_addc_u32 s13, 0, s13                                     // 0000000067BC: 820D0D80
	v_mfma_i32_16x16x32_i8 v[244:247], a[188:189], v[172:173], v[244:247]// 0000000067C0: D3D700F4 0FD359BC
	v_mfma_i32_16x16x32_i8 v[244:247], a[190:191], v[174:175], v[244:247]// 0000000067C8: D3D700F4 0FD35DBE
	s_waitcnt vmcnt(41)                                        // 0000000067D0: BF8C8F79
	v_mfma_i32_16x16x32_i8 v[216:219], a[192:193], v[148:149], v[216:219]// 0000000067D4: D3D700D8 0F6329C0
	v_mfma_i32_16x16x32_i8 v[216:219], a[194:195], v[150:151], v[216:219]// 0000000067DC: D3D700D8 0F632DC2
	buffer_load_dwordx4 a[80:83], v41, s[12:15], 0 offen       // 0000000067E4: E05C1000 80835029
	v_mfma_i32_16x16x32_i8 v[220:223], a[192:193], v[176:177], v[220:223]// 0000000067EC: D3D700DC 0F7361C0
	v_mfma_i32_16x16x32_i8 v[220:223], a[194:195], v[178:179], v[220:223]// 0000000067F4: D3D700DC 0F7365C2
	v_mfma_i32_16x16x32_i8 v[224:227], a[196:197], v[148:149], v[224:227]// 0000000067FC: D3D700E0 0F8329C4
	v_mfma_i32_16x16x32_i8 v[224:227], a[198:199], v[150:151], v[224:227]// 000000006804: D3D700E0 0F832DC6
	buffer_load_dwordx4 a[84:87], v42, s[12:15], 0 offen       // 00000000680C: E05C1000 8083542A
	v_mfma_i32_16x16x32_i8 v[228:231], a[196:197], v[176:177], v[228:231]// 000000006814: D3D700E4 0F9361C4
	v_mfma_i32_16x16x32_i8 v[228:231], a[198:199], v[178:179], v[228:231]// 00000000681C: D3D700E4 0F9365C6
	v_mfma_i32_16x16x32_i8 v[232:235], a[200:201], v[148:149], v[232:235]// 000000006824: D3D700E8 0FA329C8
	v_mfma_i32_16x16x32_i8 v[232:235], a[202:203], v[150:151], v[232:235]// 00000000682C: D3D700E8 0FA32DCA
	buffer_load_dwordx4 a[88:91], v43, s[12:15], 0 offen       // 000000006834: E05C1000 8083582B
	v_mfma_i32_16x16x32_i8 v[236:239], a[200:201], v[176:177], v[236:239]// 00000000683C: D3D700EC 0FB361C8
	v_mfma_i32_16x16x32_i8 v[236:239], a[202:203], v[178:179], v[236:239]// 000000006844: D3D700EC 0FB365CA
	v_mfma_i32_16x16x32_i8 v[240:243], a[204:205], v[148:149], v[240:243]// 00000000684C: D3D700F0 0FC329CC
	v_mfma_i32_16x16x32_i8 v[240:243], a[206:207], v[150:151], v[240:243]// 000000006854: D3D700F0 0FC32DCE
	buffer_load_dwordx4 a[92:95], v44, s[12:15], 0 offen       // 00000000685C: E05C1000 80835C2C
	s_add_u32 s12, s78, s12                                    // 000000006864: 800C0C4E
	s_addc_u32 s13, 0, s13                                     // 000000006868: 820D0D80
	v_mfma_i32_16x16x32_i8 v[244:247], a[204:205], v[176:177], v[244:247]// 00000000686C: D3D700F4 0FD361CC
	v_mfma_i32_16x16x32_i8 v[244:247], a[206:207], v[178:179], v[244:247]// 000000006874: D3D700F4 0FD365CE
	s_waitcnt vmcnt(40)                                        // 00000000687C: BF8C8F78
	v_mfma_i32_16x16x32_i8 v[216:219], a[208:209], v[152:153], v[216:219]// 000000006880: D3D700D8 0F6331D0
	v_mfma_i32_16x16x32_i8 v[216:219], a[210:211], v[154:155], v[216:219]// 000000006888: D3D700D8 0F6335D2
	buffer_load_dwordx4 a[96:99], v41, s[12:15], 0 offen       // 000000006890: E05C1000 80836029
	v_mfma_i32_16x16x32_i8 v[220:223], a[208:209], v[180:181], v[220:223]// 000000006898: D3D700DC 0F7369D0
	v_mfma_i32_16x16x32_i8 v[220:223], a[210:211], v[182:183], v[220:223]// 0000000068A0: D3D700DC 0F736DD2
	buffer_load_dword v12, v5, s[16:19], 0 offen               // 0000000068A8: E0501000 80040C05
	v_mfma_i32_16x16x32_i8 v[224:227], a[212:213], v[152:153], v[224:227]// 0000000068B0: D3D700E0 0F8331D4
	v_mfma_i32_16x16x32_i8 v[224:227], a[214:215], v[154:155], v[224:227]// 0000000068B8: D3D700E0 0F8335D6
	buffer_load_dwordx4 a[100:103], v42, s[12:15], 0 offen     // 0000000068C0: E05C1000 8083642A
	v_mfma_i32_16x16x32_i8 v[228:231], a[212:213], v[180:181], v[228:231]// 0000000068C8: D3D700E4 0F9369D4
	v_mfma_i32_16x16x32_i8 v[228:231], a[214:215], v[182:183], v[228:231]// 0000000068D0: D3D700E4 0F936DD6
	v_mfma_i32_16x16x32_i8 v[232:235], a[216:217], v[152:153], v[232:235]// 0000000068D8: D3D700E8 0FA331D8
	v_mfma_i32_16x16x32_i8 v[232:235], a[218:219], v[154:155], v[232:235]// 0000000068E0: D3D700E8 0FA335DA
	buffer_load_dwordx4 a[104:107], v43, s[12:15], 0 offen     // 0000000068E8: E05C1000 8083682B
	v_mfma_i32_16x16x32_i8 v[236:239], a[216:217], v[180:181], v[236:239]// 0000000068F0: D3D700EC 0FB369D8
	v_mfma_i32_16x16x32_i8 v[236:239], a[218:219], v[182:183], v[236:239]// 0000000068F8: D3D700EC 0FB36DDA
	v_mfma_i32_16x16x32_i8 v[240:243], a[220:221], v[152:153], v[240:243]// 000000006900: D3D700F0 0FC331DC
	v_mfma_i32_16x16x32_i8 v[240:243], a[222:223], v[154:155], v[240:243]// 000000006908: D3D700F0 0FC335DE
	buffer_load_dwordx4 a[108:111], v44, s[12:15], 0 offen     // 000000006910: E05C1000 80836C2C
	v_mfma_i32_16x16x32_i8 v[244:247], a[220:221], v[180:181], v[244:247]// 000000006918: D3D700F4 0FD369DC
	v_mfma_i32_16x16x32_i8 v[244:247], a[222:223], v[182:183], v[244:247]// 000000006920: D3D700F4 0FD36DDE
	s_add_u32 s60, 0x200, s80                                  // 000000006928: 803C50FF 00000200
	s_cmp_lt_u32 s60, s81                                      // 000000006930: BF0A513C
	s_cselect_b32 s56, s56, 0                                  // 000000006934: 85388038
	s_cselect_b32 s78, s78, 0                                  // 000000006938: 854E804E
	s_cselect_b32 s79, s79, 0                                  // 00000000693C: 854F804F
	s_add_u32 s12, s56, s12                                    // 000000006940: 800C0C38
	s_addc_u32 s13, 0, s13                                     // 000000006944: 820D0D80
	s_add_u32 s16, s79, s16                                    // 000000006948: 8010104F
	s_addc_u32 s17, 0, s17                                     // 00000000694C: 82111180
	v_cvt_f32_i32_e32 v216, v216                               // 000000006950: 7FB00BD8
	v_cvt_f32_i32_e32 v217, v217                               // 000000006954: 7FB20BD9
	v_cvt_f32_i32_e32 v218, v218                               // 000000006958: 7FB40BDA
	v_cvt_f32_i32_e32 v219, v219                               // 00000000695C: 7FB60BDB
	v_mul_f32_e32 v216, v24, v216                              // 000000006960: 0BB1B118
	v_mul_f32_e32 v217, v24, v217                              // 000000006964: 0BB3B318
	v_mul_f32_e32 v218, v24, v218                              // 000000006968: 0BB5B518
	v_mul_f32_e32 v219, v24, v219                              // 00000000696C: 0BB7B718
	v_mul_f32_dpp v216, v13, v216 row_newbcast:0 row_mask:0xf bank_mask:0xf// 000000006970: 0BB1B0FA FF01500D
	v_mul_f32_dpp v217, v13, v217 row_newbcast:1 row_mask:0xf bank_mask:0xf// 000000006978: 0BB3B2FA FF01510D
	v_mul_f32_dpp v218, v13, v218 row_newbcast:2 row_mask:0xf bank_mask:0xf// 000000006980: 0BB5B4FA FF01520D
	v_mul_f32_dpp v219, v13, v219 row_newbcast:3 row_mask:0xf bank_mask:0xf// 000000006988: 0BB7B6FA FF01530D
	v_mul_f32_e32 v216, v20, v216                              // 000000006990: 0BB1B114
	v_mul_f32_e32 v217, v20, v217                              // 000000006994: 0BB3B314
	v_mul_f32_e32 v218, v20, v218                              // 000000006998: 0BB5B514
	v_mul_f32_e32 v219, v20, v219                              // 00000000699C: 0BB7B714
	v_cvt_f32_i32_e32 v220, v220                               // 0000000069A0: 7FB80BDC
	v_cvt_f32_i32_e32 v221, v221                               // 0000000069A4: 7FBA0BDD
	v_cvt_f32_i32_e32 v222, v222                               // 0000000069A8: 7FBC0BDE
	v_cvt_f32_i32_e32 v223, v223                               // 0000000069AC: 7FBE0BDF
	v_mul_f32_e32 v220, v25, v220                              // 0000000069B0: 0BB9B919
	v_mul_f32_e32 v221, v25, v221                              // 0000000069B4: 0BBBBB19
	v_mul_f32_e32 v222, v25, v222                              // 0000000069B8: 0BBDBD19
	v_mul_f32_e32 v223, v25, v223                              // 0000000069BC: 0BBFBF19
	v_mul_f32_dpp v220, v13, v220 row_newbcast:0 row_mask:0xf bank_mask:0xf// 0000000069C0: 0BB9B8FA FF01500D
	v_mul_f32_dpp v221, v13, v221 row_newbcast:1 row_mask:0xf bank_mask:0xf// 0000000069C8: 0BBBBAFA FF01510D
	v_mul_f32_dpp v222, v13, v222 row_newbcast:2 row_mask:0xf bank_mask:0xf// 0000000069D0: 0BBDBCFA FF01520D
	v_mul_f32_dpp v223, v13, v223 row_newbcast:3 row_mask:0xf bank_mask:0xf// 0000000069D8: 0BBFBEFA FF01530D
	v_mul_f32_e32 v220, v21, v220                              // 0000000069E0: 0BB9B915
	v_mul_f32_e32 v221, v21, v221                              // 0000000069E4: 0BBBBB15
	v_mul_f32_e32 v222, v21, v222                              // 0000000069E8: 0BBDBD15
	v_mul_f32_e32 v223, v21, v223                              // 0000000069EC: 0BBFBF15
	v_cvt_f32_i32_e32 v224, v224                               // 0000000069F0: 7FC00BE0
	v_cvt_f32_i32_e32 v225, v225                               // 0000000069F4: 7FC20BE1
	v_cvt_f32_i32_e32 v226, v226                               // 0000000069F8: 7FC40BE2
	v_cvt_f32_i32_e32 v227, v227                               // 0000000069FC: 7FC60BE3
	v_mul_f32_e32 v224, v24, v224                              // 000000006A00: 0BC1C118
	v_mul_f32_e32 v225, v24, v225                              // 000000006A04: 0BC3C318
	v_mul_f32_e32 v226, v24, v226                              // 000000006A08: 0BC5C518
	v_mul_f32_e32 v227, v24, v227                              // 000000006A0C: 0BC7C718
	v_mul_f32_dpp v224, v13, v224 row_newbcast:4 row_mask:0xf bank_mask:0xf// 000000006A10: 0BC1C0FA FF01540D
	v_mul_f32_dpp v225, v13, v225 row_newbcast:5 row_mask:0xf bank_mask:0xf// 000000006A18: 0BC3C2FA FF01550D
	v_mul_f32_dpp v226, v13, v226 row_newbcast:6 row_mask:0xf bank_mask:0xf// 000000006A20: 0BC5C4FA FF01560D
	v_mul_f32_dpp v227, v13, v227 row_newbcast:7 row_mask:0xf bank_mask:0xf// 000000006A28: 0BC7C6FA FF01570D
	v_mul_f32_e32 v224, v20, v224                              // 000000006A30: 0BC1C114
	v_mul_f32_e32 v225, v20, v225                              // 000000006A34: 0BC3C314
	v_mul_f32_e32 v226, v20, v226                              // 000000006A38: 0BC5C514
	v_mul_f32_e32 v227, v20, v227                              // 000000006A3C: 0BC7C714
	v_cvt_f32_i32_e32 v228, v228                               // 000000006A40: 7FC80BE4
	v_cvt_f32_i32_e32 v229, v229                               // 000000006A44: 7FCA0BE5
	v_cvt_f32_i32_e32 v230, v230                               // 000000006A48: 7FCC0BE6
	v_cvt_f32_i32_e32 v231, v231                               // 000000006A4C: 7FCE0BE7
	v_mul_f32_e32 v228, v25, v228                              // 000000006A50: 0BC9C919
	v_mul_f32_e32 v229, v25, v229                              // 000000006A54: 0BCBCB19
	v_mul_f32_e32 v230, v25, v230                              // 000000006A58: 0BCDCD19
	v_mul_f32_e32 v231, v25, v231                              // 000000006A5C: 0BCFCF19
	v_mul_f32_dpp v228, v13, v228 row_newbcast:4 row_mask:0xf bank_mask:0xf// 000000006A60: 0BC9C8FA FF01540D
	v_mul_f32_dpp v229, v13, v229 row_newbcast:5 row_mask:0xf bank_mask:0xf// 000000006A68: 0BCBCAFA FF01550D
	v_mul_f32_dpp v230, v13, v230 row_newbcast:6 row_mask:0xf bank_mask:0xf// 000000006A70: 0BCDCCFA FF01560D
	v_mul_f32_dpp v231, v13, v231 row_newbcast:7 row_mask:0xf bank_mask:0xf// 000000006A78: 0BCFCEFA FF01570D
	v_mul_f32_e32 v228, v21, v228                              // 000000006A80: 0BC9C915
	v_mul_f32_e32 v229, v21, v229                              // 000000006A84: 0BCBCB15
	v_mul_f32_e32 v230, v21, v230                              // 000000006A88: 0BCDCD15
	v_mul_f32_e32 v231, v21, v231                              // 000000006A8C: 0BCFCF15
	v_cvt_f32_i32_e32 v232, v232                               // 000000006A90: 7FD00BE8
	v_cvt_f32_i32_e32 v233, v233                               // 000000006A94: 7FD20BE9
	v_cvt_f32_i32_e32 v234, v234                               // 000000006A98: 7FD40BEA
	v_cvt_f32_i32_e32 v235, v235                               // 000000006A9C: 7FD60BEB
	v_mul_f32_e32 v232, v24, v232                              // 000000006AA0: 0BD1D118
	v_mul_f32_e32 v233, v24, v233                              // 000000006AA4: 0BD3D318
	v_mul_f32_e32 v234, v24, v234                              // 000000006AA8: 0BD5D518
	v_mul_f32_e32 v235, v24, v235                              // 000000006AAC: 0BD7D718
	v_mul_f32_dpp v232, v13, v232 row_newbcast:8 row_mask:0xf bank_mask:0xf// 000000006AB0: 0BD1D0FA FF01580D
	v_mul_f32_dpp v233, v13, v233 row_newbcast:9 row_mask:0xf bank_mask:0xf// 000000006AB8: 0BD3D2FA FF01590D
	v_mul_f32_dpp v234, v13, v234 row_newbcast:10 row_mask:0xf bank_mask:0xf// 000000006AC0: 0BD5D4FA FF015A0D
	v_mul_f32_dpp v235, v13, v235 row_newbcast:11 row_mask:0xf bank_mask:0xf// 000000006AC8: 0BD7D6FA FF015B0D
	v_mul_f32_e32 v232, v20, v232                              // 000000006AD0: 0BD1D114
	v_mul_f32_e32 v233, v20, v233                              // 000000006AD4: 0BD3D314
	v_mul_f32_e32 v234, v20, v234                              // 000000006AD8: 0BD5D514
	v_mul_f32_e32 v235, v20, v235                              // 000000006ADC: 0BD7D714
	v_cvt_f32_i32_e32 v236, v236                               // 000000006AE0: 7FD80BEC
	v_cvt_f32_i32_e32 v237, v237                               // 000000006AE4: 7FDA0BED
	v_cvt_f32_i32_e32 v238, v238                               // 000000006AE8: 7FDC0BEE
	v_cvt_f32_i32_e32 v239, v239                               // 000000006AEC: 7FDE0BEF
	v_mul_f32_e32 v236, v25, v236                              // 000000006AF0: 0BD9D919
	v_mul_f32_e32 v237, v25, v237                              // 000000006AF4: 0BDBDB19
	v_mul_f32_e32 v238, v25, v238                              // 000000006AF8: 0BDDDD19
	v_mul_f32_e32 v239, v25, v239                              // 000000006AFC: 0BDFDF19
	v_mul_f32_dpp v236, v13, v236 row_newbcast:8 row_mask:0xf bank_mask:0xf// 000000006B00: 0BD9D8FA FF01580D
	v_mul_f32_dpp v237, v13, v237 row_newbcast:9 row_mask:0xf bank_mask:0xf// 000000006B08: 0BDBDAFA FF01590D
	v_mul_f32_dpp v238, v13, v238 row_newbcast:10 row_mask:0xf bank_mask:0xf// 000000006B10: 0BDDDCFA FF015A0D
	v_mul_f32_dpp v239, v13, v239 row_newbcast:11 row_mask:0xf bank_mask:0xf// 000000006B18: 0BDFDEFA FF015B0D
	v_mul_f32_e32 v236, v21, v236                              // 000000006B20: 0BD9D915
	v_mul_f32_e32 v237, v21, v237                              // 000000006B24: 0BDBDB15
	v_mul_f32_e32 v238, v21, v238                              // 000000006B28: 0BDDDD15
	v_mul_f32_e32 v239, v21, v239                              // 000000006B2C: 0BDFDF15
	v_cvt_f32_i32_e32 v240, v240                               // 000000006B30: 7FE00BF0
	v_cvt_f32_i32_e32 v241, v241                               // 000000006B34: 7FE20BF1
	v_cvt_f32_i32_e32 v242, v242                               // 000000006B38: 7FE40BF2
	v_cvt_f32_i32_e32 v243, v243                               // 000000006B3C: 7FE60BF3
	v_mul_f32_e32 v240, v24, v240                              // 000000006B40: 0BE1E118
	v_mul_f32_e32 v241, v24, v241                              // 000000006B44: 0BE3E318
	v_mul_f32_e32 v242, v24, v242                              // 000000006B48: 0BE5E518
	v_mul_f32_e32 v243, v24, v243                              // 000000006B4C: 0BE7E718
	v_mul_f32_dpp v240, v13, v240 row_newbcast:12 row_mask:0xf bank_mask:0xf// 000000006B50: 0BE1E0FA FF015C0D
	v_mul_f32_dpp v241, v13, v241 row_newbcast:13 row_mask:0xf bank_mask:0xf// 000000006B58: 0BE3E2FA FF015D0D
	v_mul_f32_dpp v242, v13, v242 row_newbcast:14 row_mask:0xf bank_mask:0xf// 000000006B60: 0BE5E4FA FF015E0D
	v_mul_f32_dpp v243, v13, v243 row_newbcast:15 row_mask:0xf bank_mask:0xf// 000000006B68: 0BE7E6FA FF015F0D
	v_mul_f32_e32 v240, v20, v240                              // 000000006B70: 0BE1E114
	v_mul_f32_e32 v241, v20, v241                              // 000000006B74: 0BE3E314
	v_mul_f32_e32 v242, v20, v242                              // 000000006B78: 0BE5E514
	v_mul_f32_e32 v243, v20, v243                              // 000000006B7C: 0BE7E714
	v_cvt_f32_i32_e32 v244, v244                               // 000000006B80: 7FE80BF4
	v_cvt_f32_i32_e32 v245, v245                               // 000000006B84: 7FEA0BF5
	v_cvt_f32_i32_e32 v246, v246                               // 000000006B88: 7FEC0BF6
	v_cvt_f32_i32_e32 v247, v247                               // 000000006B8C: 7FEE0BF7
	v_mul_f32_e32 v244, v25, v244                              // 000000006B90: 0BE9E919
	v_mul_f32_e32 v245, v25, v245                              // 000000006B94: 0BEBEB19
	v_mul_f32_e32 v246, v25, v246                              // 000000006B98: 0BEDED19
	v_mul_f32_e32 v247, v25, v247                              // 000000006B9C: 0BEFEF19
	v_mul_f32_dpp v244, v13, v244 row_newbcast:12 row_mask:0xf bank_mask:0xf// 000000006BA0: 0BE9E8FA FF015C0D
	v_mul_f32_dpp v245, v13, v245 row_newbcast:13 row_mask:0xf bank_mask:0xf// 000000006BA8: 0BEBEAFA FF015D0D
	v_mul_f32_dpp v246, v13, v246 row_newbcast:14 row_mask:0xf bank_mask:0xf// 000000006BB0: 0BEDECFA FF015E0D
	v_mul_f32_dpp v247, v13, v247 row_newbcast:15 row_mask:0xf bank_mask:0xf// 000000006BB8: 0BEFEEFA FF015F0D
	v_mul_f32_e32 v244, v21, v244                              // 000000006BC0: 0BE9E915
	v_mul_f32_e32 v245, v21, v245                              // 000000006BC4: 0BEBEB15
	v_mul_f32_e32 v246, v21, v246                              // 000000006BC8: 0BEDED15
	v_mul_f32_e32 v247, v21, v247                              // 000000006BCC: 0BEFEF15
	v_cmp_u_f32_e64 s[48:49], v216, v216                       // 000000006BD0: D0480030 0003B1D8
	v_add3_u32 v45, v216, v48, 1                               // 000000006BD8: D1FF002D 020661D8
	v_cndmask_b32_e64 v50, v45, v47, s[48:49]                  // 000000006BE0: D1000032 00C25F2D
	v_cmp_u_f32_e64 s[48:49], v217, v217                       // 000000006BE8: D0480030 0003B3D9
	v_add3_u32 v45, v217, v48, 1                               // 000000006BF0: D1FF002D 020661D9
	v_cndmask_b32_e64 v51, v45, v47, s[48:49]                  // 000000006BF8: D1000033 00C25F2D
	v_perm_b32 v216, v51, v50, s52                             // 000000006C00: D1ED00D8 00D26533
	v_cmp_u_f32_e64 s[48:49], v218, v218                       // 000000006C08: D0480030 0003B5DA
	v_add3_u32 v45, v218, v48, 1                               // 000000006C10: D1FF002D 020661DA
	v_cndmask_b32_e64 v50, v45, v47, s[48:49]                  // 000000006C18: D1000032 00C25F2D
	v_cmp_u_f32_e64 s[48:49], v219, v219                       // 000000006C20: D0480030 0003B7DB
	v_add3_u32 v45, v219, v48, 1                               // 000000006C28: D1FF002D 020661DB
	v_cndmask_b32_e64 v51, v45, v47, s[48:49]                  // 000000006C30: D1000033 00C25F2D
	v_perm_b32 v217, v51, v50, s52                             // 000000006C38: D1ED00D9 00D26533
	v_cmp_u_f32_e64 s[48:49], v220, v220                       // 000000006C40: D0480030 0003B9DC
	v_add3_u32 v45, v220, v48, 1                               // 000000006C48: D1FF002D 020661DC
	v_cndmask_b32_e64 v50, v45, v47, s[48:49]                  // 000000006C50: D1000032 00C25F2D
	v_cmp_u_f32_e64 s[48:49], v221, v221                       // 000000006C58: D0480030 0003BBDD
	v_add3_u32 v45, v221, v48, 1                               // 000000006C60: D1FF002D 020661DD
	v_cndmask_b32_e64 v51, v45, v47, s[48:49]                  // 000000006C68: D1000033 00C25F2D
	v_perm_b32 v218, v51, v50, s52                             // 000000006C70: D1ED00DA 00D26533
	v_cmp_u_f32_e64 s[48:49], v222, v222                       // 000000006C78: D0480030 0003BDDE
	v_add3_u32 v45, v222, v48, 1                               // 000000006C80: D1FF002D 020661DE
	v_cndmask_b32_e64 v50, v45, v47, s[48:49]                  // 000000006C88: D1000032 00C25F2D
	v_cmp_u_f32_e64 s[48:49], v223, v223                       // 000000006C90: D0480030 0003BFDF
	v_add3_u32 v45, v223, v48, 1                               // 000000006C98: D1FF002D 020661DF
	v_cndmask_b32_e64 v51, v45, v47, s[48:49]                  // 000000006CA0: D1000033 00C25F2D
	v_perm_b32 v219, v51, v50, s52                             // 000000006CA8: D1ED00DB 00D26533
	v_cmp_u_f32_e64 s[48:49], v224, v224                       // 000000006CB0: D0480030 0003C1E0
	v_add3_u32 v45, v224, v48, 1                               // 000000006CB8: D1FF002D 020661E0
	v_cndmask_b32_e64 v50, v45, v47, s[48:49]                  // 000000006CC0: D1000032 00C25F2D
	v_cmp_u_f32_e64 s[48:49], v225, v225                       // 000000006CC8: D0480030 0003C3E1
	v_add3_u32 v45, v225, v48, 1                               // 000000006CD0: D1FF002D 020661E1
	v_cndmask_b32_e64 v51, v45, v47, s[48:49]                  // 000000006CD8: D1000033 00C25F2D
	v_perm_b32 v220, v51, v50, s52                             // 000000006CE0: D1ED00DC 00D26533
	v_cmp_u_f32_e64 s[48:49], v226, v226                       // 000000006CE8: D0480030 0003C5E2
	v_add3_u32 v45, v226, v48, 1                               // 000000006CF0: D1FF002D 020661E2
	v_cndmask_b32_e64 v50, v45, v47, s[48:49]                  // 000000006CF8: D1000032 00C25F2D
	v_cmp_u_f32_e64 s[48:49], v227, v227                       // 000000006D00: D0480030 0003C7E3
	v_add3_u32 v45, v227, v48, 1                               // 000000006D08: D1FF002D 020661E3
	v_cndmask_b32_e64 v51, v45, v47, s[48:49]                  // 000000006D10: D1000033 00C25F2D
	v_perm_b32 v221, v51, v50, s52                             // 000000006D18: D1ED00DD 00D26533
	v_cmp_u_f32_e64 s[48:49], v228, v228                       // 000000006D20: D0480030 0003C9E4
	v_add3_u32 v45, v228, v48, 1                               // 000000006D28: D1FF002D 020661E4
	v_cndmask_b32_e64 v50, v45, v47, s[48:49]                  // 000000006D30: D1000032 00C25F2D
	v_cmp_u_f32_e64 s[48:49], v229, v229                       // 000000006D38: D0480030 0003CBE5
	v_add3_u32 v45, v229, v48, 1                               // 000000006D40: D1FF002D 020661E5
	v_cndmask_b32_e64 v51, v45, v47, s[48:49]                  // 000000006D48: D1000033 00C25F2D
	v_perm_b32 v222, v51, v50, s52                             // 000000006D50: D1ED00DE 00D26533
	v_cmp_u_f32_e64 s[48:49], v230, v230                       // 000000006D58: D0480030 0003CDE6
	v_add3_u32 v45, v230, v48, 1                               // 000000006D60: D1FF002D 020661E6
	v_cndmask_b32_e64 v50, v45, v47, s[48:49]                  // 000000006D68: D1000032 00C25F2D
	v_cmp_u_f32_e64 s[48:49], v231, v231                       // 000000006D70: D0480030 0003CFE7
	v_add3_u32 v45, v231, v48, 1                               // 000000006D78: D1FF002D 020661E7
	v_cndmask_b32_e64 v51, v45, v47, s[48:49]                  // 000000006D80: D1000033 00C25F2D
	v_perm_b32 v223, v51, v50, s52                             // 000000006D88: D1ED00DF 00D26533
	v_cmp_u_f32_e64 s[48:49], v232, v232                       // 000000006D90: D0480030 0003D1E8
	v_add3_u32 v45, v232, v48, 1                               // 000000006D98: D1FF002D 020661E8
	v_cndmask_b32_e64 v50, v45, v47, s[48:49]                  // 000000006DA0: D1000032 00C25F2D
	v_cmp_u_f32_e64 s[48:49], v233, v233                       // 000000006DA8: D0480030 0003D3E9
	v_add3_u32 v45, v233, v48, 1                               // 000000006DB0: D1FF002D 020661E9
	v_cndmask_b32_e64 v51, v45, v47, s[48:49]                  // 000000006DB8: D1000033 00C25F2D
	v_perm_b32 v224, v51, v50, s52                             // 000000006DC0: D1ED00E0 00D26533
	v_cmp_u_f32_e64 s[48:49], v234, v234                       // 000000006DC8: D0480030 0003D5EA
	v_add3_u32 v45, v234, v48, 1                               // 000000006DD0: D1FF002D 020661EA
	v_cndmask_b32_e64 v50, v45, v47, s[48:49]                  // 000000006DD8: D1000032 00C25F2D
	v_cmp_u_f32_e64 s[48:49], v235, v235                       // 000000006DE0: D0480030 0003D7EB
	v_add3_u32 v45, v235, v48, 1                               // 000000006DE8: D1FF002D 020661EB
	v_cndmask_b32_e64 v51, v45, v47, s[48:49]                  // 000000006DF0: D1000033 00C25F2D
	v_perm_b32 v225, v51, v50, s52                             // 000000006DF8: D1ED00E1 00D26533
	v_cmp_u_f32_e64 s[48:49], v236, v236                       // 000000006E00: D0480030 0003D9EC
	v_add3_u32 v45, v236, v48, 1                               // 000000006E08: D1FF002D 020661EC
	v_cndmask_b32_e64 v50, v45, v47, s[48:49]                  // 000000006E10: D1000032 00C25F2D
	v_cmp_u_f32_e64 s[48:49], v237, v237                       // 000000006E18: D0480030 0003DBED
	v_add3_u32 v45, v237, v48, 1                               // 000000006E20: D1FF002D 020661ED
	v_cndmask_b32_e64 v51, v45, v47, s[48:49]                  // 000000006E28: D1000033 00C25F2D
	v_perm_b32 v226, v51, v50, s52                             // 000000006E30: D1ED00E2 00D26533
	v_cmp_u_f32_e64 s[48:49], v238, v238                       // 000000006E38: D0480030 0003DDEE
	v_add3_u32 v45, v238, v48, 1                               // 000000006E40: D1FF002D 020661EE
	v_cndmask_b32_e64 v50, v45, v47, s[48:49]                  // 000000006E48: D1000032 00C25F2D
	v_cmp_u_f32_e64 s[48:49], v239, v239                       // 000000006E50: D0480030 0003DFEF
	v_add3_u32 v45, v239, v48, 1                               // 000000006E58: D1FF002D 020661EF
	v_cndmask_b32_e64 v51, v45, v47, s[48:49]                  // 000000006E60: D1000033 00C25F2D
	v_perm_b32 v227, v51, v50, s52                             // 000000006E68: D1ED00E3 00D26533
	v_cmp_u_f32_e64 s[48:49], v240, v240                       // 000000006E70: D0480030 0003E1F0
	v_add3_u32 v45, v240, v48, 1                               // 000000006E78: D1FF002D 020661F0
	v_cndmask_b32_e64 v50, v45, v47, s[48:49]                  // 000000006E80: D1000032 00C25F2D
	v_cmp_u_f32_e64 s[48:49], v241, v241                       // 000000006E88: D0480030 0003E3F1
	v_add3_u32 v45, v241, v48, 1                               // 000000006E90: D1FF002D 020661F1
	v_cndmask_b32_e64 v51, v45, v47, s[48:49]                  // 000000006E98: D1000033 00C25F2D
	v_perm_b32 v228, v51, v50, s52                             // 000000006EA0: D1ED00E4 00D26533
	v_cmp_u_f32_e64 s[48:49], v242, v242                       // 000000006EA8: D0480030 0003E5F2
	v_add3_u32 v45, v242, v48, 1                               // 000000006EB0: D1FF002D 020661F2
	v_cndmask_b32_e64 v50, v45, v47, s[48:49]                  // 000000006EB8: D1000032 00C25F2D
	v_cmp_u_f32_e64 s[48:49], v243, v243                       // 000000006EC0: D0480030 0003E7F3
	v_add3_u32 v45, v243, v48, 1                               // 000000006EC8: D1FF002D 020661F3
	v_cndmask_b32_e64 v51, v45, v47, s[48:49]                  // 000000006ED0: D1000033 00C25F2D
	v_perm_b32 v229, v51, v50, s52                             // 000000006ED8: D1ED00E5 00D26533
	v_cmp_u_f32_e64 s[48:49], v244, v244                       // 000000006EE0: D0480030 0003E9F4
	v_add3_u32 v45, v244, v48, 1                               // 000000006EE8: D1FF002D 020661F4
	v_cndmask_b32_e64 v50, v45, v47, s[48:49]                  // 000000006EF0: D1000032 00C25F2D
	v_cmp_u_f32_e64 s[48:49], v245, v245                       // 000000006EF8: D0480030 0003EBF5
	v_add3_u32 v45, v245, v48, 1                               // 000000006F00: D1FF002D 020661F5
	v_cndmask_b32_e64 v51, v45, v47, s[48:49]                  // 000000006F08: D1000033 00C25F2D
	v_perm_b32 v230, v51, v50, s52                             // 000000006F10: D1ED00E6 00D26533
	v_cmp_u_f32_e64 s[48:49], v246, v246                       // 000000006F18: D0480030 0003EDF6
	v_add3_u32 v45, v246, v48, 1                               // 000000006F20: D1FF002D 020661F6
	v_cndmask_b32_e64 v50, v45, v47, s[48:49]                  // 000000006F28: D1000032 00C25F2D
	v_cmp_u_f32_e64 s[48:49], v247, v247                       // 000000006F30: D0480030 0003EFF7
	v_add3_u32 v45, v247, v48, 1                               // 000000006F38: D1FF002D 020661F7
	v_cndmask_b32_e64 v51, v45, v47, s[48:49]                  // 000000006F40: D1000033 00C25F2D
	v_perm_b32 v231, v51, v50, s52                             // 000000006F48: D1ED00E7 00D26533
	ds_write_b64 v3, v[216:217] offset:33024                   // 000000006F50: D89A8100 0000D803
	ds_write_b64 v3, v[218:219] offset:41728                   // 000000006F58: D89AA300 0000DA03
	ds_write_b64 v3, v[220:221] offset:35200                   // 000000006F60: D89A8980 0000DC03
	ds_write_b64 v3, v[222:223] offset:43904                   // 000000006F68: D89AAB80 0000DE03
	ds_write_b64 v3, v[224:225] offset:37376                   // 000000006F70: D89A9200 0000E003
	ds_write_b64 v3, v[226:227] offset:46080                   // 000000006F78: D89AB400 0000E203
	ds_write_b64 v3, v[228:229] offset:39552                   // 000000006F80: D89A9A80 0000E403
	ds_write_b64 v3, v[230:231] offset:48256                   // 000000006F88: D89ABC80 0000E603
	s_waitcnt lgkmcnt(0)                                       // 000000006F90: BF8CC07F
	s_barrier                                                  // 000000006F94: BF8A0000
	ds_read_b32 v64, v4 offset:33024                           // 000000006F98: D86C8100 40000004
	ds_read_b32 v65, v4 offset:37376                           // 000000006FA0: D86C9200 41000004
	ds_read_b32 v66, v4 offset:33056                           // 000000006FA8: D86C8120 42000004
	ds_read_b32 v67, v4 offset:37408                           // 000000006FB0: D86C9220 43000004
	ds_read_b32 v68, v4 offset:33088                           // 000000006FB8: D86C8140 44000004
	ds_read_b32 v69, v4 offset:37440                           // 000000006FC0: D86C9240 45000004
	ds_read_b32 v70, v4 offset:33120                           // 000000006FC8: D86C8160 46000004
	ds_read_b32 v71, v4 offset:37472                           // 000000006FD0: D86C9260 47000004
	ds_read_b32 v72, v4 offset:41728                           // 000000006FD8: D86CA300 48000004
	ds_read_b32 v73, v4 offset:46080                           // 000000006FE0: D86CB400 49000004
	ds_read_b32 v74, v4 offset:41760                           // 000000006FE8: D86CA320 4A000004
	ds_read_b32 v75, v4 offset:46112                           // 000000006FF0: D86CB420 4B000004
	ds_read_b32 v76, v4 offset:41792                           // 000000006FF8: D86CA340 4C000004
	ds_read_b32 v77, v4 offset:46144                           // 000000007000: D86CB440 4D000004
	ds_read_b32 v78, v4 offset:41824                           // 000000007008: D86CA360 4E000004
	ds_read_b32 v79, v4 offset:46176                           // 000000007010: D86CB460 4F000004
	s_waitcnt lgkmcnt(0)                                       // 000000007018: BF8CC07F
	s_mov_b64 exec, s[20:21]                                   // 00000000701C: BEFE0114
	global_atomic_pk_add_bf16 v80, v64, s[8:9]                 // 000000007020: DD488000 00084050
	s_mov_b64 exec, s[36:37]                                   // 000000007028: BEFE0124
	s_mov_b64 exec, s[20:21]                                   // 00000000702C: BEFE0114
	global_atomic_pk_add_bf16 v80, v65, s[8:9] offset:256      // 000000007030: DD488100 00084150
	s_mov_b64 exec, s[36:37]                                   // 000000007038: BEFE0124
	s_mov_b64 exec, s[22:23]                                   // 00000000703C: BEFE0116
	global_atomic_pk_add_bf16 v82, v66, s[8:9]                 // 000000007040: DD488000 00084252
	s_mov_b64 exec, s[36:37]                                   // 000000007048: BEFE0124
	s_mov_b64 exec, s[22:23]                                   // 00000000704C: BEFE0116
	global_atomic_pk_add_bf16 v82, v67, s[8:9] offset:256      // 000000007050: DD488100 00084352
	s_mov_b64 exec, s[36:37]                                   // 000000007058: BEFE0124
	s_mov_b64 exec, s[24:25]                                   // 00000000705C: BEFE0118
	global_atomic_pk_add_bf16 v84, v68, s[8:9]                 // 000000007060: DD488000 00084454
	s_mov_b64 exec, s[36:37]                                   // 000000007068: BEFE0124
	s_mov_b64 exec, s[24:25]                                   // 00000000706C: BEFE0118
	global_atomic_pk_add_bf16 v84, v69, s[8:9] offset:256      // 000000007070: DD488100 00084554
	s_mov_b64 exec, s[36:37]                                   // 000000007078: BEFE0124
	s_mov_b64 exec, s[26:27]                                   // 00000000707C: BEFE011A
	global_atomic_pk_add_bf16 v86, v70, s[8:9]                 // 000000007080: DD488000 00084656
	s_mov_b64 exec, s[36:37]                                   // 000000007088: BEFE0124
	s_mov_b64 exec, s[26:27]                                   // 00000000708C: BEFE011A
	global_atomic_pk_add_bf16 v86, v71, s[8:9] offset:256      // 000000007090: DD488100 00084756
	s_mov_b64 exec, s[36:37]                                   // 000000007098: BEFE0124
	s_mov_b64 exec, s[28:29]                                   // 00000000709C: BEFE011C
	global_atomic_pk_add_bf16 v88, v72, s[8:9]                 // 0000000070A0: DD488000 00084858
	s_mov_b64 exec, s[36:37]                                   // 0000000070A8: BEFE0124
	s_mov_b64 exec, s[28:29]                                   // 0000000070AC: BEFE011C
	global_atomic_pk_add_bf16 v88, v73, s[8:9] offset:256      // 0000000070B0: DD488100 00084958
	s_mov_b64 exec, s[36:37]                                   // 0000000070B8: BEFE0124
	s_mov_b64 exec, s[30:31]                                   // 0000000070BC: BEFE011E
	global_atomic_pk_add_bf16 v90, v74, s[8:9]                 // 0000000070C0: DD488000 00084A5A
	s_mov_b64 exec, s[36:37]                                   // 0000000070C8: BEFE0124
	s_mov_b64 exec, s[30:31]                                   // 0000000070CC: BEFE011E
	global_atomic_pk_add_bf16 v90, v75, s[8:9] offset:256      // 0000000070D0: DD488100 00084B5A
	s_mov_b64 exec, s[36:37]                                   // 0000000070D8: BEFE0124
	s_mov_b64 exec, s[32:33]                                   // 0000000070DC: BEFE0120
	global_atomic_pk_add_bf16 v92, v76, s[8:9]                 // 0000000070E0: DD488000 00084C5C
	s_mov_b64 exec, s[36:37]                                   // 0000000070E8: BEFE0124
	s_mov_b64 exec, s[32:33]                                   // 0000000070EC: BEFE0120
	global_atomic_pk_add_bf16 v92, v77, s[8:9] offset:256      // 0000000070F0: DD488100 00084D5C
	s_mov_b64 exec, s[36:37]                                   // 0000000070F8: BEFE0124
	s_mov_b64 exec, s[34:35]                                   // 0000000070FC: BEFE0122
	global_atomic_pk_add_bf16 v94, v78, s[8:9]                 // 000000007100: DD488000 00084E5E
	s_mov_b64 exec, s[36:37]                                   // 000000007108: BEFE0124
	s_mov_b64 exec, s[34:35]                                   // 00000000710C: BEFE0122
	global_atomic_pk_add_bf16 v94, v79, s[8:9] offset:256      // 000000007110: DD488100 00084F5E
	s_mov_b64 exec, s[36:37]                                   // 000000007118: BEFE0124
	s_add_u32 s8, s59, s8                                      // 00000000711C: 8008083B
	s_addc_u32 s9, 0, s9                                       // 000000007120: 82090980
	s_addk_i32 s80, 0x100                                      // 000000007124: B7500100
	s_cmp_lt_i32 s80, s81                                      // 000000007128: BF045150
	s_cbranch_scc0 label_118D                                  // 00000000712C: BF840001
	s_branch label_0B2C                                        // 000000007130: BF82F99F

0000000000007134 <label_118D>:
	s_nop 0                                                    // 000000007134: BF800000
	s_nop 0                                                    // 000000007138: BF800000
	s_branch label_2086                                        // 00000000713C: BF820EF6

0000000000007140 <label_1190>:
	s_waitcnt vmcnt(20) lgkmcnt(0)                             // 000000007140: BF8C4074
	s_barrier                                                  // 000000007144: BF8A0000
	v_mfma_i32_16x16x32_i8 v[128:131], a[0:1], v[184:185], v[128:131]// 000000007148: D3D70080 0E037100
	buffer_load_dwordx4 a[112:115], v34, s[24:27], 0 offen     // 000000007150: E05C1000 80867022
	v_mfma_i32_16x16x32_i8 v[128:131], a[2:3], v[186:187], v[128:131]// 000000007158: D3D70080 0E037502
	v_mfma_i32_16x16x32_i8 v[128:131], a[4:5], v[188:189], v[128:131]// 000000007160: D3D70080 0E037904
	buffer_load_dword v26, s[20:23], 0 offen lds               // 000000007168: E0511000 8005001A
	s_add_u32 m0, 0x100, s50                                   // 000000007170: 807C32FF 00000100
	v_mfma_i32_16x16x32_i8 v[128:131], a[6:7], v[190:191], v[128:131]// 000000007178: D3D70080 0E037D06
	v_mfma_i32_16x16x32_i8 v[128:131], a[8:9], v[192:193], v[128:131]// 000000007180: D3D70080 0E038108
	buffer_load_dwordx4 a[116:119], v34, s[24:27], 0 offen offset:1024// 000000007188: E05C1400 80867422
	v_mfma_i32_16x16x32_i8 v[128:131], a[10:11], v[194:195], v[128:131]// 000000007190: D3D70080 0E03850A
	v_mfma_i32_16x16x32_i8 v[128:131], a[12:13], v[196:197], v[128:131]// 000000007198: D3D70080 0E03890C
	buffer_load_dword v27, s[20:23], 0 offen lds               // 0000000071A0: E0511000 8005001B
	s_add_u32 m0, 0x200, s50                                   // 0000000071A8: 807C32FF 00000200
	v_mfma_i32_16x16x32_i8 v[128:131], a[14:15], v[198:199], v[128:131]// 0000000071B0: D3D70080 0E038D0E
	v_mfma_i32_16x16x32_i8 v[132:135], a[0:1], v[200:201], v[132:135]// 0000000071B8: D3D70084 0E139100
	buffer_load_dwordx4 a[120:123], v34, s[24:27], 0 offen offset:2048// 0000000071C0: E05C1800 80867822
	v_mfma_i32_16x16x32_i8 v[132:135], a[2:3], v[202:203], v[132:135]// 0000000071C8: D3D70084 0E139502
	v_mfma_i32_16x16x32_i8 v[132:135], a[4:5], v[204:205], v[132:135]// 0000000071D0: D3D70084 0E139904
	buffer_load_dword v28, s[20:23], 0 offen lds               // 0000000071D8: E0511000 8005001C
	s_add_u32 m0, 0x300, s50                                   // 0000000071E0: 807C32FF 00000300
	v_mfma_i32_16x16x32_i8 v[132:135], a[6:7], v[206:207], v[132:135]// 0000000071E8: D3D70084 0E139D06
	v_mfma_i32_16x16x32_i8 v[132:135], a[8:9], v[208:209], v[132:135]// 0000000071F0: D3D70084 0E13A108
	buffer_load_dwordx4 a[124:127], v34, s[24:27], 0 offen offset:3072// 0000000071F8: E05C1C00 80867C22
	v_mfma_i32_16x16x32_i8 v[132:135], a[10:11], v[210:211], v[132:135]// 000000007200: D3D70084 0E13A50A
	v_mfma_i32_16x16x32_i8 v[132:135], a[12:13], v[212:213], v[132:135]// 000000007208: D3D70084 0E13A90C
	buffer_load_dword v29, s[20:23], 0 offen lds               // 000000007210: E0511000 8005001D
	s_add_u32 m0, 0x400, s50                                   // 000000007218: 807C32FF 00000400
	v_mfma_i32_16x16x32_i8 v[132:135], a[14:15], v[214:215], v[132:135]// 000000007220: D3D70084 0E13AD0E
	v_mfma_i32_16x16x32_i8 v[136:139], a[16:17], v[184:185], v[136:139]// 000000007228: D3D70088 0E237110
	buffer_load_dwordx4 a[128:131], v35, s[24:27], 0 offen     // 000000007230: E05C1000 80868023
	v_mfma_i32_16x16x32_i8 v[136:139], a[18:19], v[186:187], v[136:139]// 000000007238: D3D70088 0E237512
	v_mfma_i32_16x16x32_i8 v[136:139], a[20:21], v[188:189], v[136:139]// 000000007240: D3D70088 0E237914
	buffer_load_dword v30, s[20:23], 0 offen lds               // 000000007248: E0511000 8005001E
	s_add_u32 m0, 0x500, s50                                   // 000000007250: 807C32FF 00000500
	v_mfma_i32_16x16x32_i8 v[136:139], a[22:23], v[190:191], v[136:139]// 000000007258: D3D70088 0E237D16
	v_mfma_i32_16x16x32_i8 v[136:139], a[24:25], v[192:193], v[136:139]// 000000007260: D3D70088 0E238118
	buffer_load_dwordx4 a[132:135], v35, s[24:27], 0 offen offset:1024// 000000007268: E05C1400 80868423
	v_mfma_i32_16x16x32_i8 v[136:139], a[26:27], v[194:195], v[136:139]// 000000007270: D3D70088 0E23851A
	v_mfma_i32_16x16x32_i8 v[136:139], a[28:29], v[196:197], v[136:139]// 000000007278: D3D70088 0E23891C
	buffer_load_dword v31, s[20:23], 0 offen lds               // 000000007280: E0511000 8005001F
	s_add_u32 m0, 0x600, s50                                   // 000000007288: 807C32FF 00000600
	v_mfma_i32_16x16x32_i8 v[136:139], a[30:31], v[198:199], v[136:139]// 000000007290: D3D70088 0E238D1E
	v_mfma_i32_16x16x32_i8 v[140:143], a[16:17], v[200:201], v[140:143]// 000000007298: D3D7008C 0E339110
	buffer_load_dwordx4 a[136:139], v35, s[24:27], 0 offen offset:2048// 0000000072A0: E05C1800 80868823
	v_mfma_i32_16x16x32_i8 v[140:143], a[18:19], v[202:203], v[140:143]// 0000000072A8: D3D7008C 0E339512
	v_mfma_i32_16x16x32_i8 v[140:143], a[20:21], v[204:205], v[140:143]// 0000000072B0: D3D7008C 0E339914
	buffer_load_dword v32, s[20:23], 0 offen lds               // 0000000072B8: E0511000 80050020
	s_add_u32 m0, 0x700, s50                                   // 0000000072C0: 807C32FF 00000700
	v_mfma_i32_16x16x32_i8 v[140:143], a[22:23], v[206:207], v[140:143]// 0000000072C8: D3D7008C 0E339D16
	v_mfma_i32_16x16x32_i8 v[140:143], a[24:25], v[208:209], v[140:143]// 0000000072D0: D3D7008C 0E33A118
	buffer_load_dwordx4 a[140:143], v35, s[24:27], 0 offen offset:3072// 0000000072D8: E05C1C00 80868C23
	v_mfma_i32_16x16x32_i8 v[140:143], a[26:27], v[210:211], v[140:143]// 0000000072E0: D3D7008C 0E33A51A
	v_mfma_i32_16x16x32_i8 v[140:143], a[28:29], v[212:213], v[140:143]// 0000000072E8: D3D7008C 0E33A91C
	buffer_load_dword v33, s[20:23], 0 offen lds               // 0000000072F0: E0511000 80050021
	s_add_u32 m0, 0, s51                                       // 0000000072F8: 807C3380
	v_mfma_i32_16x16x32_i8 v[140:143], a[30:31], v[214:215], v[140:143]// 0000000072FC: D3D7008C 0E33AD1E
	s_waitcnt vmcnt(32)                                        // 000000007304: BF8C8F70
	v_mfma_i32_16x16x32_i8 v[144:147], a[32:33], v[184:185], v[144:147]// 000000007308: D3D70090 0E437120
	buffer_load_dwordx4 a[144:147], v36, s[24:27], 0 offen     // 000000007310: E05C1000 80869024
	v_mfma_i32_16x16x32_i8 v[144:147], a[34:35], v[186:187], v[144:147]// 000000007318: D3D70090 0E437522
	v_mfma_i32_16x16x32_i8 v[144:147], a[36:37], v[188:189], v[144:147]// 000000007320: D3D70090 0E437924
	ds_read_b128 v[216:219], v2 offset:8320                    // 000000007328: D9FE2080 D8000002
	v_mfma_i32_16x16x32_i8 v[144:147], a[38:39], v[190:191], v[144:147]// 000000007330: D3D70090 0E437D26
	v_mfma_i32_16x16x32_i8 v[144:147], a[40:41], v[192:193], v[144:147]// 000000007338: D3D70090 0E438128
	buffer_load_dwordx4 a[148:151], v36, s[24:27], 0 offen offset:1024// 000000007340: E05C1400 80869424
	v_mfma_i32_16x16x32_i8 v[144:147], a[42:43], v[194:195], v[144:147]// 000000007348: D3D70090 0E43852A
	v_mfma_i32_16x16x32_i8 v[144:147], a[44:45], v[196:197], v[144:147]// 000000007350: D3D70090 0E43892C
	ds_read_b128 v[220:223], v2 offset:8384                    // 000000007358: D9FE20C0 DC000002
	v_mfma_i32_16x16x32_i8 v[144:147], a[46:47], v[198:199], v[144:147]// 000000007360: D3D70090 0E438D2E
	v_mfma_i32_16x16x32_i8 v[148:151], a[32:33], v[200:201], v[148:151]// 000000007368: D3D70094 0E539120
	buffer_load_dwordx4 a[152:155], v36, s[24:27], 0 offen offset:2048// 000000007370: E05C1800 80869824
	v_mfma_i32_16x16x32_i8 v[148:151], a[34:35], v[202:203], v[148:151]// 000000007378: D3D70094 0E539522
	v_mfma_i32_16x16x32_i8 v[148:151], a[36:37], v[204:205], v[148:151]// 000000007380: D3D70094 0E539924
	ds_read_b128 v[224:227], v2 offset:8448                    // 000000007388: D9FE2100 E0000002
	v_mfma_i32_16x16x32_i8 v[148:151], a[38:39], v[206:207], v[148:151]// 000000007390: D3D70094 0E539D26
	v_mfma_i32_16x16x32_i8 v[148:151], a[40:41], v[208:209], v[148:151]// 000000007398: D3D70094 0E53A128
	buffer_load_dwordx4 a[156:159], v36, s[24:27], 0 offen offset:3072// 0000000073A0: E05C1C00 80869C24
	v_mfma_i32_16x16x32_i8 v[148:151], a[42:43], v[210:211], v[148:151]// 0000000073A8: D3D70094 0E53A52A
	v_mfma_i32_16x16x32_i8 v[148:151], a[44:45], v[212:213], v[148:151]// 0000000073B0: D3D70094 0E53A92C
	ds_read_b128 v[228:231], v2 offset:8512                    // 0000000073B8: D9FE2140 E4000002
	v_mfma_i32_16x16x32_i8 v[148:151], a[46:47], v[214:215], v[148:151]// 0000000073C0: D3D70094 0E53AD2E
	s_waitcnt vmcnt(32)                                        // 0000000073C8: BF8C8F70
	v_mfma_i32_16x16x32_i8 v[152:155], a[48:49], v[184:185], v[152:155]// 0000000073CC: D3D70098 0E637130
	buffer_load_dwordx4 a[160:163], v37, s[24:27], 0 offen     // 0000000073D4: E05C1000 8086A025
	v_mfma_i32_16x16x32_i8 v[152:155], a[50:51], v[186:187], v[152:155]// 0000000073DC: D3D70098 0E637532
	v_mfma_i32_16x16x32_i8 v[152:155], a[52:53], v[188:189], v[152:155]// 0000000073E4: D3D70098 0E637934
	ds_read_b128 v[232:235], v2 offset:9344                    // 0000000073EC: D9FE2480 E8000002
	v_mfma_i32_16x16x32_i8 v[152:155], a[54:55], v[190:191], v[152:155]// 0000000073F4: D3D70098 0E637D36
	v_mfma_i32_16x16x32_i8 v[152:155], a[56:57], v[192:193], v[152:155]// 0000000073FC: D3D70098 0E638138
	buffer_load_dwordx4 a[164:167], v37, s[24:27], 0 offen offset:1024// 000000007404: E05C1400 8086A425
	v_mfma_i32_16x16x32_i8 v[152:155], a[58:59], v[194:195], v[152:155]// 00000000740C: D3D70098 0E63853A
	v_mfma_i32_16x16x32_i8 v[152:155], a[60:61], v[196:197], v[152:155]// 000000007414: D3D70098 0E63893C
	ds_read_b128 v[236:239], v2 offset:9408                    // 00000000741C: D9FE24C0 EC000002
	v_mfma_i32_16x16x32_i8 v[152:155], a[62:63], v[198:199], v[152:155]// 000000007424: D3D70098 0E638D3E
	v_mfma_i32_16x16x32_i8 v[156:159], a[48:49], v[200:201], v[156:159]// 00000000742C: D3D7009C 0E739130
	buffer_load_dwordx4 a[168:171], v37, s[24:27], 0 offen offset:2048// 000000007434: E05C1800 8086A825
	v_mfma_i32_16x16x32_i8 v[156:159], a[50:51], v[202:203], v[156:159]// 00000000743C: D3D7009C 0E739532
	v_mfma_i32_16x16x32_i8 v[156:159], a[52:53], v[204:205], v[156:159]// 000000007444: D3D7009C 0E739934
	ds_read_b128 v[240:243], v2 offset:9472                    // 00000000744C: D9FE2500 F0000002
	v_mfma_i32_16x16x32_i8 v[156:159], a[54:55], v[206:207], v[156:159]// 000000007454: D3D7009C 0E739D36
	v_mfma_i32_16x16x32_i8 v[156:159], a[56:57], v[208:209], v[156:159]// 00000000745C: D3D7009C 0E73A138
	buffer_load_dwordx4 a[172:175], v37, s[24:27], 0 offen offset:3072// 000000007464: E05C1C00 8086AC25
	v_mfma_i32_16x16x32_i8 v[156:159], a[58:59], v[210:211], v[156:159]// 00000000746C: D3D7009C 0E73A53A
	v_mfma_i32_16x16x32_i8 v[156:159], a[60:61], v[212:213], v[156:159]// 000000007474: D3D7009C 0E73A93C
	ds_read_b128 v[244:247], v2 offset:9536                    // 00000000747C: D9FE2540 F4000002
	v_mfma_i32_16x16x32_i8 v[156:159], a[62:63], v[214:215], v[156:159]// 000000007484: D3D7009C 0E73AD3E
	s_waitcnt vmcnt(32)                                        // 00000000748C: BF8C8F70
	v_mfma_i32_16x16x32_i8 v[160:163], a[64:65], v[184:185], v[160:163]// 000000007490: D3D700A0 0E837140
	buffer_load_dwordx4 a[176:179], v38, s[24:27], 0 offen     // 000000007498: E05C1000 8086B026
	v_mfma_i32_16x16x32_i8 v[160:163], a[66:67], v[186:187], v[160:163]// 0000000074A0: D3D700A0 0E837542
	v_mfma_i32_16x16x32_i8 v[160:163], a[68:69], v[188:189], v[160:163]// 0000000074A8: D3D700A0 0E837944
	v_mfma_i32_16x16x32_i8 v[160:163], a[70:71], v[190:191], v[160:163]// 0000000074B0: D3D700A0 0E837D46
	v_mfma_i32_16x16x32_i8 v[160:163], a[72:73], v[192:193], v[160:163]// 0000000074B8: D3D700A0 0E838148
	buffer_load_dwordx4 a[180:183], v38, s[24:27], 0 offen offset:1024// 0000000074C0: E05C1400 8086B426
	v_mfma_i32_16x16x32_i8 v[160:163], a[74:75], v[194:195], v[160:163]// 0000000074C8: D3D700A0 0E83854A
	v_mfma_i32_16x16x32_i8 v[160:163], a[76:77], v[196:197], v[160:163]// 0000000074D0: D3D700A0 0E83894C
	v_mfma_i32_16x16x32_i8 v[160:163], a[78:79], v[198:199], v[160:163]// 0000000074D8: D3D700A0 0E838D4E
	v_mfma_i32_16x16x32_i8 v[164:167], a[64:65], v[200:201], v[164:167]// 0000000074E0: D3D700A4 0E939140
	buffer_load_dwordx4 a[184:187], v38, s[24:27], 0 offen offset:2048// 0000000074E8: E05C1800 8086B826
	v_mfma_i32_16x16x32_i8 v[164:167], a[66:67], v[202:203], v[164:167]// 0000000074F0: D3D700A4 0E939542
	v_mfma_i32_16x16x32_i8 v[164:167], a[68:69], v[204:205], v[164:167]// 0000000074F8: D3D700A4 0E939944
	v_mfma_i32_16x16x32_i8 v[164:167], a[70:71], v[206:207], v[164:167]// 000000007500: D3D700A4 0E939D46
	v_mfma_i32_16x16x32_i8 v[164:167], a[72:73], v[208:209], v[164:167]// 000000007508: D3D700A4 0E93A148
	buffer_load_dwordx4 a[188:191], v38, s[24:27], 0 offen offset:3072// 000000007510: E05C1C00 8086BC26
	v_mfma_i32_16x16x32_i8 v[164:167], a[74:75], v[210:211], v[164:167]// 000000007518: D3D700A4 0E93A54A
	v_mfma_i32_16x16x32_i8 v[164:167], a[76:77], v[212:213], v[164:167]// 000000007520: D3D700A4 0E93A94C
	v_mfma_i32_16x16x32_i8 v[164:167], a[78:79], v[214:215], v[164:167]// 000000007528: D3D700A4 0E93AD4E
	s_waitcnt vmcnt(32)                                        // 000000007530: BF8C8F70
	v_mfma_i32_16x16x32_i8 v[168:171], a[80:81], v[184:185], v[168:171]// 000000007534: D3D700A8 0EA37150
	buffer_load_dwordx4 a[192:195], v39, s[24:27], 0 offen     // 00000000753C: E05C1000 8086C027
	v_mfma_i32_16x16x32_i8 v[168:171], a[82:83], v[186:187], v[168:171]// 000000007544: D3D700A8 0EA37552
	v_mfma_i32_16x16x32_i8 v[168:171], a[84:85], v[188:189], v[168:171]// 00000000754C: D3D700A8 0EA37954
	v_mfma_i32_16x16x32_i8 v[168:171], a[86:87], v[190:191], v[168:171]// 000000007554: D3D700A8 0EA37D56
	v_mfma_i32_16x16x32_i8 v[168:171], a[88:89], v[192:193], v[168:171]// 00000000755C: D3D700A8 0EA38158
	buffer_load_dwordx4 a[196:199], v39, s[24:27], 0 offen offset:1024// 000000007564: E05C1400 8086C427
	v_mfma_i32_16x16x32_i8 v[168:171], a[90:91], v[194:195], v[168:171]// 00000000756C: D3D700A8 0EA3855A
	v_mfma_i32_16x16x32_i8 v[168:171], a[92:93], v[196:197], v[168:171]// 000000007574: D3D700A8 0EA3895C
	v_mfma_i32_16x16x32_i8 v[168:171], a[94:95], v[198:199], v[168:171]// 00000000757C: D3D700A8 0EA38D5E
	v_mfma_i32_16x16x32_i8 v[172:175], a[80:81], v[200:201], v[172:175]// 000000007584: D3D700AC 0EB39150
	buffer_load_dwordx4 a[200:203], v39, s[24:27], 0 offen offset:2048// 00000000758C: E05C1800 8086C827
	v_mfma_i32_16x16x32_i8 v[172:175], a[82:83], v[202:203], v[172:175]// 000000007594: D3D700AC 0EB39552
	v_mfma_i32_16x16x32_i8 v[172:175], a[84:85], v[204:205], v[172:175]// 00000000759C: D3D700AC 0EB39954
	v_mfma_i32_16x16x32_i8 v[172:175], a[86:87], v[206:207], v[172:175]// 0000000075A4: D3D700AC 0EB39D56
	v_mfma_i32_16x16x32_i8 v[172:175], a[88:89], v[208:209], v[172:175]// 0000000075AC: D3D700AC 0EB3A158
	buffer_load_dwordx4 a[204:207], v39, s[24:27], 0 offen offset:3072// 0000000075B4: E05C1C00 8086CC27
	v_mfma_i32_16x16x32_i8 v[172:175], a[90:91], v[210:211], v[172:175]// 0000000075BC: D3D700AC 0EB3A55A
	v_mfma_i32_16x16x32_i8 v[172:175], a[92:93], v[212:213], v[172:175]// 0000000075C4: D3D700AC 0EB3A95C
	v_mfma_i32_16x16x32_i8 v[172:175], a[94:95], v[214:215], v[172:175]// 0000000075CC: D3D700AC 0EB3AD5E
	s_waitcnt vmcnt(32)                                        // 0000000075D4: BF8C8F70
	v_mfma_i32_16x16x32_i8 v[176:179], a[96:97], v[184:185], v[176:179]// 0000000075D8: D3D700B0 0EC37160
	buffer_load_dwordx4 a[208:211], v40, s[24:27], 0 offen     // 0000000075E0: E05C1000 8086D028
	v_mfma_i32_16x16x32_i8 v[176:179], a[98:99], v[186:187], v[176:179]// 0000000075E8: D3D700B0 0EC37562
	v_mfma_i32_16x16x32_i8 v[176:179], a[100:101], v[188:189], v[176:179]// 0000000075F0: D3D700B0 0EC37964
	v_mfma_i32_16x16x32_i8 v[176:179], a[102:103], v[190:191], v[176:179]// 0000000075F8: D3D700B0 0EC37D66
	v_mfma_i32_16x16x32_i8 v[176:179], a[104:105], v[192:193], v[176:179]// 000000007600: D3D700B0 0EC38168
	buffer_load_dwordx4 a[212:215], v40, s[24:27], 0 offen offset:1024// 000000007608: E05C1400 8086D428
	v_mfma_i32_16x16x32_i8 v[176:179], a[106:107], v[194:195], v[176:179]// 000000007610: D3D700B0 0EC3856A
	v_mfma_i32_16x16x32_i8 v[176:179], a[108:109], v[196:197], v[176:179]// 000000007618: D3D700B0 0EC3896C
	v_mfma_i32_16x16x32_i8 v[176:179], a[110:111], v[198:199], v[176:179]// 000000007620: D3D700B0 0EC38D6E
	v_mfma_i32_16x16x32_i8 v[180:183], a[96:97], v[200:201], v[180:183]// 000000007628: D3D700B4 0ED39160
	buffer_load_dwordx4 a[216:219], v40, s[24:27], 0 offen offset:2048// 000000007630: E05C1800 8086D828
	v_mfma_i32_16x16x32_i8 v[180:183], a[98:99], v[202:203], v[180:183]// 000000007638: D3D700B4 0ED39562
	v_mfma_i32_16x16x32_i8 v[180:183], a[100:101], v[204:205], v[180:183]// 000000007640: D3D700B4 0ED39964
	v_mfma_i32_16x16x32_i8 v[180:183], a[102:103], v[206:207], v[180:183]// 000000007648: D3D700B4 0ED39D66
	v_mfma_i32_16x16x32_i8 v[180:183], a[104:105], v[208:209], v[180:183]// 000000007650: D3D700B4 0ED3A168
	buffer_load_dwordx4 a[220:223], v40, s[24:27], 0 offen offset:3072// 000000007658: E05C1C00 8086DC28
	v_mfma_i32_16x16x32_i8 v[180:183], a[106:107], v[210:211], v[180:183]// 000000007660: D3D700B4 0ED3A56A
	v_mfma_i32_16x16x32_i8 v[180:183], a[108:109], v[212:213], v[180:183]// 000000007668: D3D700B4 0ED3A96C
	v_mfma_i32_16x16x32_i8 v[180:183], a[110:111], v[214:215], v[180:183]// 000000007670: D3D700B4 0ED3AD6E
	s_add_u32 s60, 0x300, s80                                  // 000000007678: 803C50FF 00000300
	s_cmp_lt_u32 s60, s81                                      // 000000007680: BF0A513C
	s_cselect_b32 s57, s57, 0                                  // 000000007684: 85398039
	s_add_u32 s60, 0x200, s80                                  // 000000007688: 803C50FF 00000200
	s_cmp_lt_u32 s60, s81                                      // 000000007690: BF0A513C
	s_cselect_b32 s58, s58, 0                                  // 000000007694: 853A803A
	s_add_u32 s20, s57, s20                                    // 000000007698: 80141439
	s_addc_u32 s21, 0, s21                                     // 00000000769C: 82151580
	s_add_u32 s24, s58, s24                                    // 0000000076A0: 8018183A
	s_addc_u32 s25, 0, s25                                     // 0000000076A4: 82191980
	s_addk_i32 s80, 0x100                                      // 0000000076A8: B7500100
	s_cmp_lt_i32 s80, s81                                      // 0000000076AC: BF045150
	s_cbranch_scc0 label_144B                                  // 0000000076B0: BF84015E
	s_waitcnt vmcnt(20) lgkmcnt(0)                             // 0000000076B4: BF8C4074
	s_barrier                                                  // 0000000076B8: BF8A0000
	v_mfma_i32_16x16x32_i8 v[128:131], a[112:113], v[216:217], v[128:131]// 0000000076BC: D3D70080 0E03B170
	buffer_load_dwordx4 a[0:3], v34, s[24:27], 0 offen         // 0000000076C4: E05C1000 80860022
	v_mfma_i32_16x16x32_i8 v[128:131], a[114:115], v[218:219], v[128:131]// 0000000076CC: D3D70080 0E03B572
	v_mfma_i32_16x16x32_i8 v[128:131], a[116:117], v[220:221], v[128:131]// 0000000076D4: D3D70080 0E03B974
	buffer_load_dword v26, s[20:23], 0 offen lds               // 0000000076DC: E0511000 8005001A
	s_add_u32 m0, 0x100, s51                                   // 0000000076E4: 807C33FF 00000100
	v_mfma_i32_16x16x32_i8 v[128:131], a[118:119], v[222:223], v[128:131]// 0000000076EC: D3D70080 0E03BD76
	v_mfma_i32_16x16x32_i8 v[128:131], a[120:121], v[224:225], v[128:131]// 0000000076F4: D3D70080 0E03C178
	buffer_load_dwordx4 a[4:7], v34, s[24:27], 0 offen offset:1024// 0000000076FC: E05C1400 80860422
	v_mfma_i32_16x16x32_i8 v[128:131], a[122:123], v[226:227], v[128:131]// 000000007704: D3D70080 0E03C57A
	v_mfma_i32_16x16x32_i8 v[128:131], a[124:125], v[228:229], v[128:131]// 00000000770C: D3D70080 0E03C97C
	buffer_load_dword v27, s[20:23], 0 offen lds               // 000000007714: E0511000 8005001B
	s_add_u32 m0, 0x200, s51                                   // 00000000771C: 807C33FF 00000200
	v_mfma_i32_16x16x32_i8 v[128:131], a[126:127], v[230:231], v[128:131]// 000000007724: D3D70080 0E03CD7E
	v_mfma_i32_16x16x32_i8 v[132:135], a[112:113], v[232:233], v[132:135]// 00000000772C: D3D70084 0E13D170
	buffer_load_dwordx4 a[8:11], v34, s[24:27], 0 offen offset:2048// 000000007734: E05C1800 80860822
	v_mfma_i32_16x16x32_i8 v[132:135], a[114:115], v[234:235], v[132:135]// 00000000773C: D3D70084 0E13D572
	v_mfma_i32_16x16x32_i8 v[132:135], a[116:117], v[236:237], v[132:135]// 000000007744: D3D70084 0E13D974
	buffer_load_dword v28, s[20:23], 0 offen lds               // 00000000774C: E0511000 8005001C
	s_add_u32 m0, 0x300, s51                                   // 000000007754: 807C33FF 00000300
	v_mfma_i32_16x16x32_i8 v[132:135], a[118:119], v[238:239], v[132:135]// 00000000775C: D3D70084 0E13DD76
	v_mfma_i32_16x16x32_i8 v[132:135], a[120:121], v[240:241], v[132:135]// 000000007764: D3D70084 0E13E178
	buffer_load_dwordx4 a[12:15], v34, s[24:27], 0 offen offset:3072// 00000000776C: E05C1C00 80860C22
	v_mfma_i32_16x16x32_i8 v[132:135], a[122:123], v[242:243], v[132:135]// 000000007774: D3D70084 0E13E57A
	v_mfma_i32_16x16x32_i8 v[132:135], a[124:125], v[244:245], v[132:135]// 00000000777C: D3D70084 0E13E97C
	buffer_load_dword v29, s[20:23], 0 offen lds               // 000000007784: E0511000 8005001D
	s_add_u32 m0, 0x400, s51                                   // 00000000778C: 807C33FF 00000400
	v_mfma_i32_16x16x32_i8 v[132:135], a[126:127], v[246:247], v[132:135]// 000000007794: D3D70084 0E13ED7E
	v_mfma_i32_16x16x32_i8 v[136:139], a[128:129], v[216:217], v[136:139]// 00000000779C: D3D70088 0E23B180
	buffer_load_dwordx4 a[16:19], v35, s[24:27], 0 offen       // 0000000077A4: E05C1000 80861023
	v_mfma_i32_16x16x32_i8 v[136:139], a[130:131], v[218:219], v[136:139]// 0000000077AC: D3D70088 0E23B582
	v_mfma_i32_16x16x32_i8 v[136:139], a[132:133], v[220:221], v[136:139]// 0000000077B4: D3D70088 0E23B984
	buffer_load_dword v30, s[20:23], 0 offen lds               // 0000000077BC: E0511000 8005001E
	s_add_u32 m0, 0x500, s51                                   // 0000000077C4: 807C33FF 00000500
	v_mfma_i32_16x16x32_i8 v[136:139], a[134:135], v[222:223], v[136:139]// 0000000077CC: D3D70088 0E23BD86
	v_mfma_i32_16x16x32_i8 v[136:139], a[136:137], v[224:225], v[136:139]// 0000000077D4: D3D70088 0E23C188
	buffer_load_dwordx4 a[20:23], v35, s[24:27], 0 offen offset:1024// 0000000077DC: E05C1400 80861423
	v_mfma_i32_16x16x32_i8 v[136:139], a[138:139], v[226:227], v[136:139]// 0000000077E4: D3D70088 0E23C58A
	v_mfma_i32_16x16x32_i8 v[136:139], a[140:141], v[228:229], v[136:139]// 0000000077EC: D3D70088 0E23C98C
	buffer_load_dword v31, s[20:23], 0 offen lds               // 0000000077F4: E0511000 8005001F
	s_add_u32 m0, 0x600, s51                                   // 0000000077FC: 807C33FF 00000600
	v_mfma_i32_16x16x32_i8 v[136:139], a[142:143], v[230:231], v[136:139]// 000000007804: D3D70088 0E23CD8E
	v_mfma_i32_16x16x32_i8 v[140:143], a[128:129], v[232:233], v[140:143]// 00000000780C: D3D7008C 0E33D180
	buffer_load_dwordx4 a[24:27], v35, s[24:27], 0 offen offset:2048// 000000007814: E05C1800 80861823
	v_mfma_i32_16x16x32_i8 v[140:143], a[130:131], v[234:235], v[140:143]// 00000000781C: D3D7008C 0E33D582
	v_mfma_i32_16x16x32_i8 v[140:143], a[132:133], v[236:237], v[140:143]// 000000007824: D3D7008C 0E33D984
	buffer_load_dword v32, s[20:23], 0 offen lds               // 00000000782C: E0511000 80050020
	s_add_u32 m0, 0x700, s51                                   // 000000007834: 807C33FF 00000700
	v_mfma_i32_16x16x32_i8 v[140:143], a[134:135], v[238:239], v[140:143]// 00000000783C: D3D7008C 0E33DD86
	v_mfma_i32_16x16x32_i8 v[140:143], a[136:137], v[240:241], v[140:143]// 000000007844: D3D7008C 0E33E188
	buffer_load_dwordx4 a[28:31], v35, s[24:27], 0 offen offset:3072// 00000000784C: E05C1C00 80861C23
	v_mfma_i32_16x16x32_i8 v[140:143], a[138:139], v[242:243], v[140:143]// 000000007854: D3D7008C 0E33E58A
	v_mfma_i32_16x16x32_i8 v[140:143], a[140:141], v[244:245], v[140:143]// 00000000785C: D3D7008C 0E33E98C
	buffer_load_dword v33, s[20:23], 0 offen lds               // 000000007864: E0511000 80050021
	s_add_u32 m0, 0, s50                                       // 00000000786C: 807C3280
	v_mfma_i32_16x16x32_i8 v[140:143], a[142:143], v[246:247], v[140:143]// 000000007870: D3D7008C 0E33ED8E
	s_waitcnt vmcnt(32)                                        // 000000007878: BF8C8F70
	v_mfma_i32_16x16x32_i8 v[144:147], a[144:145], v[216:217], v[144:147]// 00000000787C: D3D70090 0E43B190
	buffer_load_dwordx4 a[32:35], v36, s[24:27], 0 offen       // 000000007884: E05C1000 80862024
	v_mfma_i32_16x16x32_i8 v[144:147], a[146:147], v[218:219], v[144:147]// 00000000788C: D3D70090 0E43B592
	v_mfma_i32_16x16x32_i8 v[144:147], a[148:149], v[220:221], v[144:147]// 000000007894: D3D70090 0E43B994
	ds_read_b128 v[184:187], v2                                // 00000000789C: D9FE0000 B8000002
	v_mfma_i32_16x16x32_i8 v[144:147], a[150:151], v[222:223], v[144:147]// 0000000078A4: D3D70090 0E43BD96
	v_mfma_i32_16x16x32_i8 v[144:147], a[152:153], v[224:225], v[144:147]// 0000000078AC: D3D70090 0E43C198
	buffer_load_dwordx4 a[36:39], v36, s[24:27], 0 offen offset:1024// 0000000078B4: E05C1400 80862424
	v_mfma_i32_16x16x32_i8 v[144:147], a[154:155], v[226:227], v[144:147]// 0000000078BC: D3D70090 0E43C59A
	v_mfma_i32_16x16x32_i8 v[144:147], a[156:157], v[228:229], v[144:147]// 0000000078C4: D3D70090 0E43C99C
	ds_read_b128 v[188:191], v2 offset:64                      // 0000000078CC: D9FE0040 BC000002
	v_mfma_i32_16x16x32_i8 v[144:147], a[158:159], v[230:231], v[144:147]// 0000000078D4: D3D70090 0E43CD9E
	v_mfma_i32_16x16x32_i8 v[148:151], a[144:145], v[232:233], v[148:151]// 0000000078DC: D3D70094 0E53D190
	buffer_load_dwordx4 a[40:43], v36, s[24:27], 0 offen offset:2048// 0000000078E4: E05C1800 80862824
	v_mfma_i32_16x16x32_i8 v[148:151], a[146:147], v[234:235], v[148:151]// 0000000078EC: D3D70094 0E53D592
	v_mfma_i32_16x16x32_i8 v[148:151], a[148:149], v[236:237], v[148:151]// 0000000078F4: D3D70094 0E53D994
	ds_read_b128 v[192:195], v2 offset:128                     // 0000000078FC: D9FE0080 C0000002
	v_mfma_i32_16x16x32_i8 v[148:151], a[150:151], v[238:239], v[148:151]// 000000007904: D3D70094 0E53DD96
	v_mfma_i32_16x16x32_i8 v[148:151], a[152:153], v[240:241], v[148:151]// 00000000790C: D3D70094 0E53E198
	buffer_load_dwordx4 a[44:47], v36, s[24:27], 0 offen offset:3072// 000000007914: E05C1C00 80862C24
	v_mfma_i32_16x16x32_i8 v[148:151], a[154:155], v[242:243], v[148:151]// 00000000791C: D3D70094 0E53E59A
	v_mfma_i32_16x16x32_i8 v[148:151], a[156:157], v[244:245], v[148:151]// 000000007924: D3D70094 0E53E99C
	ds_read_b128 v[196:199], v2 offset:192                     // 00000000792C: D9FE00C0 C4000002
	v_mfma_i32_16x16x32_i8 v[148:151], a[158:159], v[246:247], v[148:151]// 000000007934: D3D70094 0E53ED9E
	s_waitcnt vmcnt(32)                                        // 00000000793C: BF8C8F70
	v_mfma_i32_16x16x32_i8 v[152:155], a[160:161], v[216:217], v[152:155]// 000000007940: D3D70098 0E63B1A0
	buffer_load_dwordx4 a[48:51], v37, s[24:27], 0 offen       // 000000007948: E05C1000 80863025
	v_mfma_i32_16x16x32_i8 v[152:155], a[162:163], v[218:219], v[152:155]// 000000007950: D3D70098 0E63B5A2
	v_mfma_i32_16x16x32_i8 v[152:155], a[164:165], v[220:221], v[152:155]// 000000007958: D3D70098 0E63B9A4
	ds_read_b128 v[200:203], v2 offset:1024                    // 000000007960: D9FE0400 C8000002
	v_mfma_i32_16x16x32_i8 v[152:155], a[166:167], v[222:223], v[152:155]// 000000007968: D3D70098 0E63BDA6
	v_mfma_i32_16x16x32_i8 v[152:155], a[168:169], v[224:225], v[152:155]// 000000007970: D3D70098 0E63C1A8
	buffer_load_dwordx4 a[52:55], v37, s[24:27], 0 offen offset:1024// 000000007978: E05C1400 80863425
	v_mfma_i32_16x16x32_i8 v[152:155], a[170:171], v[226:227], v[152:155]// 000000007980: D3D70098 0E63C5AA
	v_mfma_i32_16x16x32_i8 v[152:155], a[172:173], v[228:229], v[152:155]// 000000007988: D3D70098 0E63C9AC
	ds_read_b128 v[204:207], v2 offset:1088                    // 000000007990: D9FE0440 CC000002
	v_mfma_i32_16x16x32_i8 v[152:155], a[174:175], v[230:231], v[152:155]// 000000007998: D3D70098 0E63CDAE
	v_mfma_i32_16x16x32_i8 v[156:159], a[160:161], v[232:233], v[156:159]// 0000000079A0: D3D7009C 0E73D1A0
	buffer_load_dwordx4 a[56:59], v37, s[24:27], 0 offen offset:2048// 0000000079A8: E05C1800 80863825
	v_mfma_i32_16x16x32_i8 v[156:159], a[162:163], v[234:235], v[156:159]// 0000000079B0: D3D7009C 0E73D5A2
	v_mfma_i32_16x16x32_i8 v[156:159], a[164:165], v[236:237], v[156:159]// 0000000079B8: D3D7009C 0E73D9A4
	ds_read_b128 v[208:211], v2 offset:1152                    // 0000000079C0: D9FE0480 D0000002
	v_mfma_i32_16x16x32_i8 v[156:159], a[166:167], v[238:239], v[156:159]// 0000000079C8: D3D7009C 0E73DDA6
	v_mfma_i32_16x16x32_i8 v[156:159], a[168:169], v[240:241], v[156:159]// 0000000079D0: D3D7009C 0E73E1A8
	buffer_load_dwordx4 a[60:63], v37, s[24:27], 0 offen offset:3072// 0000000079D8: E05C1C00 80863C25
	v_mfma_i32_16x16x32_i8 v[156:159], a[170:171], v[242:243], v[156:159]// 0000000079E0: D3D7009C 0E73E5AA
	v_mfma_i32_16x16x32_i8 v[156:159], a[172:173], v[244:245], v[156:159]// 0000000079E8: D3D7009C 0E73E9AC
	ds_read_b128 v[212:215], v2 offset:1216                    // 0000000079F0: D9FE04C0 D4000002
	v_mfma_i32_16x16x32_i8 v[156:159], a[174:175], v[246:247], v[156:159]// 0000000079F8: D3D7009C 0E73EDAE
	s_waitcnt vmcnt(32)                                        // 000000007A00: BF8C8F70
	v_mfma_i32_16x16x32_i8 v[160:163], a[176:177], v[216:217], v[160:163]// 000000007A04: D3D700A0 0E83B1B0
	buffer_load_dwordx4 a[64:67], v38, s[24:27], 0 offen       // 000000007A0C: E05C1000 80864026
	v_mfma_i32_16x16x32_i8 v[160:163], a[178:179], v[218:219], v[160:163]// 000000007A14: D3D700A0 0E83B5B2
	v_mfma_i32_16x16x32_i8 v[160:163], a[180:181], v[220:221], v[160:163]// 000000007A1C: D3D700A0 0E83B9B4
	v_mfma_i32_16x16x32_i8 v[160:163], a[182:183], v[222:223], v[160:163]// 000000007A24: D3D700A0 0E83BDB6
	v_mfma_i32_16x16x32_i8 v[160:163], a[184:185], v[224:225], v[160:163]// 000000007A2C: D3D700A0 0E83C1B8
	buffer_load_dwordx4 a[68:71], v38, s[24:27], 0 offen offset:1024// 000000007A34: E05C1400 80864426
	v_mfma_i32_16x16x32_i8 v[160:163], a[186:187], v[226:227], v[160:163]// 000000007A3C: D3D700A0 0E83C5BA
	v_mfma_i32_16x16x32_i8 v[160:163], a[188:189], v[228:229], v[160:163]// 000000007A44: D3D700A0 0E83C9BC
	v_mfma_i32_16x16x32_i8 v[160:163], a[190:191], v[230:231], v[160:163]// 000000007A4C: D3D700A0 0E83CDBE
	v_mfma_i32_16x16x32_i8 v[164:167], a[176:177], v[232:233], v[164:167]// 000000007A54: D3D700A4 0E93D1B0
	buffer_load_dwordx4 a[72:75], v38, s[24:27], 0 offen offset:2048// 000000007A5C: E05C1800 80864826
	v_mfma_i32_16x16x32_i8 v[164:167], a[178:179], v[234:235], v[164:167]// 000000007A64: D3D700A4 0E93D5B2
	v_mfma_i32_16x16x32_i8 v[164:167], a[180:181], v[236:237], v[164:167]// 000000007A6C: D3D700A4 0E93D9B4
	v_mfma_i32_16x16x32_i8 v[164:167], a[182:183], v[238:239], v[164:167]// 000000007A74: D3D700A4 0E93DDB6
	v_mfma_i32_16x16x32_i8 v[164:167], a[184:185], v[240:241], v[164:167]// 000000007A7C: D3D700A4 0E93E1B8
	buffer_load_dwordx4 a[76:79], v38, s[24:27], 0 offen offset:3072// 000000007A84: E05C1C00 80864C26
	v_mfma_i32_16x16x32_i8 v[164:167], a[186:187], v[242:243], v[164:167]// 000000007A8C: D3D700A4 0E93E5BA
	v_mfma_i32_16x16x32_i8 v[164:167], a[188:189], v[244:245], v[164:167]// 000000007A94: D3D700A4 0E93E9BC
	v_mfma_i32_16x16x32_i8 v[164:167], a[190:191], v[246:247], v[164:167]// 000000007A9C: D3D700A4 0E93EDBE
	s_waitcnt vmcnt(32)                                        // 000000007AA4: BF8C8F70
	v_mfma_i32_16x16x32_i8 v[168:171], a[192:193], v[216:217], v[168:171]// 000000007AA8: D3D700A8 0EA3B1C0
	buffer_load_dwordx4 a[80:83], v39, s[24:27], 0 offen       // 000000007AB0: E05C1000 80865027
	v_mfma_i32_16x16x32_i8 v[168:171], a[194:195], v[218:219], v[168:171]// 000000007AB8: D3D700A8 0EA3B5C2
	v_mfma_i32_16x16x32_i8 v[168:171], a[196:197], v[220:221], v[168:171]// 000000007AC0: D3D700A8 0EA3B9C4
	v_mfma_i32_16x16x32_i8 v[168:171], a[198:199], v[222:223], v[168:171]// 000000007AC8: D3D700A8 0EA3BDC6
	v_mfma_i32_16x16x32_i8 v[168:171], a[200:201], v[224:225], v[168:171]// 000000007AD0: D3D700A8 0EA3C1C8
	buffer_load_dwordx4 a[84:87], v39, s[24:27], 0 offen offset:1024// 000000007AD8: E05C1400 80865427
	v_mfma_i32_16x16x32_i8 v[168:171], a[202:203], v[226:227], v[168:171]// 000000007AE0: D3D700A8 0EA3C5CA
	v_mfma_i32_16x16x32_i8 v[168:171], a[204:205], v[228:229], v[168:171]// 000000007AE8: D3D700A8 0EA3C9CC
	v_mfma_i32_16x16x32_i8 v[168:171], a[206:207], v[230:231], v[168:171]// 000000007AF0: D3D700A8 0EA3CDCE
	v_mfma_i32_16x16x32_i8 v[172:175], a[192:193], v[232:233], v[172:175]// 000000007AF8: D3D700AC 0EB3D1C0
	buffer_load_dwordx4 a[88:91], v39, s[24:27], 0 offen offset:2048// 000000007B00: E05C1800 80865827
	v_mfma_i32_16x16x32_i8 v[172:175], a[194:195], v[234:235], v[172:175]// 000000007B08: D3D700AC 0EB3D5C2
	v_mfma_i32_16x16x32_i8 v[172:175], a[196:197], v[236:237], v[172:175]// 000000007B10: D3D700AC 0EB3D9C4
	v_mfma_i32_16x16x32_i8 v[172:175], a[198:199], v[238:239], v[172:175]// 000000007B18: D3D700AC 0EB3DDC6
	v_mfma_i32_16x16x32_i8 v[172:175], a[200:201], v[240:241], v[172:175]// 000000007B20: D3D700AC 0EB3E1C8
	buffer_load_dwordx4 a[92:95], v39, s[24:27], 0 offen offset:3072// 000000007B28: E05C1C00 80865C27
	v_mfma_i32_16x16x32_i8 v[172:175], a[202:203], v[242:243], v[172:175]// 000000007B30: D3D700AC 0EB3E5CA
	v_mfma_i32_16x16x32_i8 v[172:175], a[204:205], v[244:245], v[172:175]// 000000007B38: D3D700AC 0EB3E9CC
	v_mfma_i32_16x16x32_i8 v[172:175], a[206:207], v[246:247], v[172:175]// 000000007B40: D3D700AC 0EB3EDCE
	s_waitcnt vmcnt(32)                                        // 000000007B48: BF8C8F70
	v_mfma_i32_16x16x32_i8 v[176:179], a[208:209], v[216:217], v[176:179]// 000000007B4C: D3D700B0 0EC3B1D0
	buffer_load_dwordx4 a[96:99], v40, s[24:27], 0 offen       // 000000007B54: E05C1000 80866028
	v_mfma_i32_16x16x32_i8 v[176:179], a[210:211], v[218:219], v[176:179]// 000000007B5C: D3D700B0 0EC3B5D2
	v_mfma_i32_16x16x32_i8 v[176:179], a[212:213], v[220:221], v[176:179]// 000000007B64: D3D700B0 0EC3B9D4
	v_mfma_i32_16x16x32_i8 v[176:179], a[214:215], v[222:223], v[176:179]// 000000007B6C: D3D700B0 0EC3BDD6
	v_mfma_i32_16x16x32_i8 v[176:179], a[216:217], v[224:225], v[176:179]// 000000007B74: D3D700B0 0EC3C1D8
	buffer_load_dwordx4 a[100:103], v40, s[24:27], 0 offen offset:1024// 000000007B7C: E05C1400 80866428
	v_mfma_i32_16x16x32_i8 v[176:179], a[218:219], v[226:227], v[176:179]// 000000007B84: D3D700B0 0EC3C5DA
	v_mfma_i32_16x16x32_i8 v[176:179], a[220:221], v[228:229], v[176:179]// 000000007B8C: D3D700B0 0EC3C9DC
	v_mfma_i32_16x16x32_i8 v[176:179], a[222:223], v[230:231], v[176:179]// 000000007B94: D3D700B0 0EC3CDDE
	v_mfma_i32_16x16x32_i8 v[180:183], a[208:209], v[232:233], v[180:183]// 000000007B9C: D3D700B4 0ED3D1D0
	buffer_load_dwordx4 a[104:107], v40, s[24:27], 0 offen offset:2048// 000000007BA4: E05C1800 80866828
	v_mfma_i32_16x16x32_i8 v[180:183], a[210:211], v[234:235], v[180:183]// 000000007BAC: D3D700B4 0ED3D5D2
	v_mfma_i32_16x16x32_i8 v[180:183], a[212:213], v[236:237], v[180:183]// 000000007BB4: D3D700B4 0ED3D9D4
	v_mfma_i32_16x16x32_i8 v[180:183], a[214:215], v[238:239], v[180:183]// 000000007BBC: D3D700B4 0ED3DDD6
	v_mfma_i32_16x16x32_i8 v[180:183], a[216:217], v[240:241], v[180:183]// 000000007BC4: D3D700B4 0ED3E1D8
	buffer_load_dwordx4 a[108:111], v40, s[24:27], 0 offen offset:3072// 000000007BCC: E05C1C00 80866C28
	v_mfma_i32_16x16x32_i8 v[180:183], a[218:219], v[242:243], v[180:183]// 000000007BD4: D3D700B4 0ED3E5DA
	v_mfma_i32_16x16x32_i8 v[180:183], a[220:221], v[244:245], v[180:183]// 000000007BDC: D3D700B4 0ED3E9DC
	v_mfma_i32_16x16x32_i8 v[180:183], a[222:223], v[246:247], v[180:183]// 000000007BE4: D3D700B4 0ED3EDDE
	s_add_u32 s60, 0x300, s80                                  // 000000007BEC: 803C50FF 00000300
	s_cmp_lt_u32 s60, s81                                      // 000000007BF4: BF0A513C
	s_cselect_b32 s57, s57, 0                                  // 000000007BF8: 85398039
	s_add_u32 s60, 0x200, s80                                  // 000000007BFC: 803C50FF 00000200
	s_cmp_lt_u32 s60, s81                                      // 000000007C04: BF0A513C
	s_cselect_b32 s58, s58, 0                                  // 000000007C08: 853A803A
	s_add_u32 s20, s57, s20                                    // 000000007C0C: 80141439
	s_addc_u32 s21, 0, s21                                     // 000000007C10: 82151580
	s_add_u32 s24, s58, s24                                    // 000000007C14: 8018183A
	s_addc_u32 s25, 0, s25                                     // 000000007C18: 82191980
	s_addk_i32 s80, 0x100                                      // 000000007C1C: B7500100
	s_cmp_lt_i32 s80, s81                                      // 000000007C20: BF045150
	s_cbranch_scc0 label_144B                                  // 000000007C24: BF840001
	s_branch label_1190                                        // 000000007C28: BF82FD45

0000000000007c2c <label_144B>:
	s_mov_b32 s36, -1                                          // 000000007C2C: BEA400C1
	s_mov_b32 s37, -1                                          // 000000007C30: BEA500C1
	s_mov_b64 s[60:61], 0                                      // 000000007C34: BEBC0180
	s_cmp_lt_u32 s82, s66                                      // 000000007C38: BF0A4252
	s_cselect_b64 s[20:21], s[36:37], s[60:61]                 // 000000007C3C: 85943C24
	s_cmp_lt_u32 s83, s66                                      // 000000007C40: BF0A4253
	s_cselect_b64 s[22:23], s[36:37], s[60:61]                 // 000000007C44: 85963C24
	s_cmp_lt_u32 s84, s66                                      // 000000007C48: BF0A4254
	s_cselect_b64 s[24:25], s[36:37], s[60:61]                 // 000000007C4C: 85983C24
	s_cmp_lt_u32 s85, s66                                      // 000000007C50: BF0A4255
	s_cselect_b64 s[26:27], s[36:37], s[60:61]                 // 000000007C54: 859A3C24
	s_cmp_lt_u32 s86, s66                                      // 000000007C58: BF0A4256
	s_cselect_b64 s[28:29], s[36:37], s[60:61]                 // 000000007C5C: 859C3C24
	s_cmp_lt_u32 s87, s66                                      // 000000007C60: BF0A4257
	s_cselect_b64 s[30:31], s[36:37], s[60:61]                 // 000000007C64: 859E3C24
	s_cmp_lt_u32 s88, s66                                      // 000000007C68: BF0A4258
	s_cselect_b64 s[32:33], s[36:37], s[60:61]                 // 000000007C6C: 85A03C24
	s_cmp_lt_u32 s89, s66                                      // 000000007C70: BF0A4259
	s_cselect_b64 s[34:35], s[36:37], s[60:61]                 // 000000007C74: 85A23C24
	v_cvt_f32_i32_e32 v128, v128                               // 000000007C78: 7F000B80
	v_cvt_f32_i32_e32 v129, v129                               // 000000007C7C: 7F020B81
	v_cvt_f32_i32_e32 v130, v130                               // 000000007C80: 7F040B82
	v_cvt_f32_i32_e32 v131, v131                               // 000000007C84: 7F060B83
	v_mul_f32_e32 v128, v14, v128                              // 000000007C88: 0B01010E
	v_mul_f32_e32 v129, v14, v129                              // 000000007C8C: 0B03030E
	v_mul_f32_e32 v130, v14, v130                              // 000000007C90: 0B05050E
	v_mul_f32_e32 v131, v14, v131                              // 000000007C94: 0B07070E
	v_mul_f32_dpp v128, v16, v128 row_newbcast:0 row_mask:0xf bank_mask:0xf// 000000007C98: 0B0100FA FF015010
	v_mul_f32_dpp v129, v16, v129 row_newbcast:1 row_mask:0xf bank_mask:0xf// 000000007CA0: 0B0302FA FF015110
	v_mul_f32_dpp v130, v16, v130 row_newbcast:2 row_mask:0xf bank_mask:0xf// 000000007CA8: 0B0504FA FF015210
	v_mul_f32_dpp v131, v16, v131 row_newbcast:3 row_mask:0xf bank_mask:0xf// 000000007CB0: 0B0706FA FF015310
	v_cvt_f32_i32_e32 v132, v132                               // 000000007CB8: 7F080B84
	v_cvt_f32_i32_e32 v133, v133                               // 000000007CBC: 7F0A0B85
	v_cvt_f32_i32_e32 v134, v134                               // 000000007CC0: 7F0C0B86
	v_cvt_f32_i32_e32 v135, v135                               // 000000007CC4: 7F0E0B87
	v_mul_f32_e32 v132, v15, v132                              // 000000007CC8: 0B09090F
	v_mul_f32_e32 v133, v15, v133                              // 000000007CCC: 0B0B0B0F
	v_mul_f32_e32 v134, v15, v134                              // 000000007CD0: 0B0D0D0F
	v_mul_f32_e32 v135, v15, v135                              // 000000007CD4: 0B0F0F0F
	v_mul_f32_dpp v132, v16, v132 row_newbcast:0 row_mask:0xf bank_mask:0xf// 000000007CD8: 0B0908FA FF015010
	v_mul_f32_dpp v133, v16, v133 row_newbcast:1 row_mask:0xf bank_mask:0xf// 000000007CE0: 0B0B0AFA FF015110
	v_mul_f32_dpp v134, v16, v134 row_newbcast:2 row_mask:0xf bank_mask:0xf// 000000007CE8: 0B0D0CFA FF015210
	v_mul_f32_dpp v135, v16, v135 row_newbcast:3 row_mask:0xf bank_mask:0xf// 000000007CF0: 0B0F0EFA FF015310
	v_cvt_f32_i32_e32 v136, v136                               // 000000007CF8: 7F100B88
	v_cvt_f32_i32_e32 v137, v137                               // 000000007CFC: 7F120B89
	v_cvt_f32_i32_e32 v138, v138                               // 000000007D00: 7F140B8A
	v_cvt_f32_i32_e32 v139, v139                               // 000000007D04: 7F160B8B
	v_mul_f32_e32 v136, v14, v136                              // 000000007D08: 0B11110E
	v_mul_f32_e32 v137, v14, v137                              // 000000007D0C: 0B13130E
	v_mul_f32_e32 v138, v14, v138                              // 000000007D10: 0B15150E
	v_mul_f32_e32 v139, v14, v139                              // 000000007D14: 0B17170E
	v_mul_f32_dpp v136, v16, v136 row_newbcast:4 row_mask:0xf bank_mask:0xf// 000000007D18: 0B1110FA FF015410
	v_mul_f32_dpp v137, v16, v137 row_newbcast:5 row_mask:0xf bank_mask:0xf// 000000007D20: 0B1312FA FF015510
	v_mul_f32_dpp v138, v16, v138 row_newbcast:6 row_mask:0xf bank_mask:0xf// 000000007D28: 0B1514FA FF015610
	v_mul_f32_dpp v139, v16, v139 row_newbcast:7 row_mask:0xf bank_mask:0xf// 000000007D30: 0B1716FA FF015710
	v_cvt_f32_i32_e32 v140, v140                               // 000000007D38: 7F180B8C
	v_cvt_f32_i32_e32 v141, v141                               // 000000007D3C: 7F1A0B8D
	v_cvt_f32_i32_e32 v142, v142                               // 000000007D40: 7F1C0B8E
	v_cvt_f32_i32_e32 v143, v143                               // 000000007D44: 7F1E0B8F
	v_mul_f32_e32 v140, v15, v140                              // 000000007D48: 0B19190F
	v_mul_f32_e32 v141, v15, v141                              // 000000007D4C: 0B1B1B0F
	v_mul_f32_e32 v142, v15, v142                              // 000000007D50: 0B1D1D0F
	v_mul_f32_e32 v143, v15, v143                              // 000000007D54: 0B1F1F0F
	v_mul_f32_dpp v140, v16, v140 row_newbcast:4 row_mask:0xf bank_mask:0xf// 000000007D58: 0B1918FA FF015410
	v_mul_f32_dpp v141, v16, v141 row_newbcast:5 row_mask:0xf bank_mask:0xf// 000000007D60: 0B1B1AFA FF015510
	v_mul_f32_dpp v142, v16, v142 row_newbcast:6 row_mask:0xf bank_mask:0xf// 000000007D68: 0B1D1CFA FF015610
	v_mul_f32_dpp v143, v16, v143 row_newbcast:7 row_mask:0xf bank_mask:0xf// 000000007D70: 0B1F1EFA FF015710
	v_cvt_f32_i32_e32 v144, v144                               // 000000007D78: 7F200B90
	v_cvt_f32_i32_e32 v145, v145                               // 000000007D7C: 7F220B91
	v_cvt_f32_i32_e32 v146, v146                               // 000000007D80: 7F240B92
	v_cvt_f32_i32_e32 v147, v147                               // 000000007D84: 7F260B93
	v_mul_f32_e32 v144, v14, v144                              // 000000007D88: 0B21210E
	v_mul_f32_e32 v145, v14, v145                              // 000000007D8C: 0B23230E
	v_mul_f32_e32 v146, v14, v146                              // 000000007D90: 0B25250E
	v_mul_f32_e32 v147, v14, v147                              // 000000007D94: 0B27270E
	v_mul_f32_dpp v144, v16, v144 row_newbcast:8 row_mask:0xf bank_mask:0xf// 000000007D98: 0B2120FA FF015810
	v_mul_f32_dpp v145, v16, v145 row_newbcast:9 row_mask:0xf bank_mask:0xf// 000000007DA0: 0B2322FA FF015910
	v_mul_f32_dpp v146, v16, v146 row_newbcast:10 row_mask:0xf bank_mask:0xf// 000000007DA8: 0B2524FA FF015A10
	v_mul_f32_dpp v147, v16, v147 row_newbcast:11 row_mask:0xf bank_mask:0xf// 000000007DB0: 0B2726FA FF015B10
	v_cvt_f32_i32_e32 v148, v148                               // 000000007DB8: 7F280B94
	v_cvt_f32_i32_e32 v149, v149                               // 000000007DBC: 7F2A0B95
	v_cvt_f32_i32_e32 v150, v150                               // 000000007DC0: 7F2C0B96
	v_cvt_f32_i32_e32 v151, v151                               // 000000007DC4: 7F2E0B97
	v_mul_f32_e32 v148, v15, v148                              // 000000007DC8: 0B29290F
	v_mul_f32_e32 v149, v15, v149                              // 000000007DCC: 0B2B2B0F
	v_mul_f32_e32 v150, v15, v150                              // 000000007DD0: 0B2D2D0F
	v_mul_f32_e32 v151, v15, v151                              // 000000007DD4: 0B2F2F0F
	v_mul_f32_dpp v148, v16, v148 row_newbcast:8 row_mask:0xf bank_mask:0xf// 000000007DD8: 0B2928FA FF015810
	v_mul_f32_dpp v149, v16, v149 row_newbcast:9 row_mask:0xf bank_mask:0xf// 000000007DE0: 0B2B2AFA FF015910
	v_mul_f32_dpp v150, v16, v150 row_newbcast:10 row_mask:0xf bank_mask:0xf// 000000007DE8: 0B2D2CFA FF015A10
	v_mul_f32_dpp v151, v16, v151 row_newbcast:11 row_mask:0xf bank_mask:0xf// 000000007DF0: 0B2F2EFA FF015B10
	v_cvt_f32_i32_e32 v152, v152                               // 000000007DF8: 7F300B98
	v_cvt_f32_i32_e32 v153, v153                               // 000000007DFC: 7F320B99
	v_cvt_f32_i32_e32 v154, v154                               // 000000007E00: 7F340B9A
	v_cvt_f32_i32_e32 v155, v155                               // 000000007E04: 7F360B9B
	v_mul_f32_e32 v152, v14, v152                              // 000000007E08: 0B31310E
	v_mul_f32_e32 v153, v14, v153                              // 000000007E0C: 0B33330E
	v_mul_f32_e32 v154, v14, v154                              // 000000007E10: 0B35350E
	v_mul_f32_e32 v155, v14, v155                              // 000000007E14: 0B37370E
	v_mul_f32_dpp v152, v16, v152 row_newbcast:12 row_mask:0xf bank_mask:0xf// 000000007E18: 0B3130FA FF015C10
	v_mul_f32_dpp v153, v16, v153 row_newbcast:13 row_mask:0xf bank_mask:0xf// 000000007E20: 0B3332FA FF015D10
	v_mul_f32_dpp v154, v16, v154 row_newbcast:14 row_mask:0xf bank_mask:0xf// 000000007E28: 0B3534FA FF015E10
	v_mul_f32_dpp v155, v16, v155 row_newbcast:15 row_mask:0xf bank_mask:0xf// 000000007E30: 0B3736FA FF015F10
	v_cvt_f32_i32_e32 v156, v156                               // 000000007E38: 7F380B9C
	v_cvt_f32_i32_e32 v157, v157                               // 000000007E3C: 7F3A0B9D
	v_cvt_f32_i32_e32 v158, v158                               // 000000007E40: 7F3C0B9E
	v_cvt_f32_i32_e32 v159, v159                               // 000000007E44: 7F3E0B9F
	v_mul_f32_e32 v156, v15, v156                              // 000000007E48: 0B39390F
	v_mul_f32_e32 v157, v15, v157                              // 000000007E4C: 0B3B3B0F
	v_mul_f32_e32 v158, v15, v158                              // 000000007E50: 0B3D3D0F
	v_mul_f32_e32 v159, v15, v159                              // 000000007E54: 0B3F3F0F
	v_mul_f32_dpp v156, v16, v156 row_newbcast:12 row_mask:0xf bank_mask:0xf// 000000007E58: 0B3938FA FF015C10
	v_mul_f32_dpp v157, v16, v157 row_newbcast:13 row_mask:0xf bank_mask:0xf// 000000007E60: 0B3B3AFA FF015D10
	v_mul_f32_dpp v158, v16, v158 row_newbcast:14 row_mask:0xf bank_mask:0xf// 000000007E68: 0B3D3CFA FF015E10
	v_mul_f32_dpp v159, v16, v159 row_newbcast:15 row_mask:0xf bank_mask:0xf// 000000007E70: 0B3F3EFA FF015F10
	v_cvt_f32_i32_e32 v160, v160                               // 000000007E78: 7F400BA0
	v_cvt_f32_i32_e32 v161, v161                               // 000000007E7C: 7F420BA1
	v_cvt_f32_i32_e32 v162, v162                               // 000000007E80: 7F440BA2
	v_cvt_f32_i32_e32 v163, v163                               // 000000007E84: 7F460BA3
	v_mul_f32_e32 v160, v14, v160                              // 000000007E88: 0B41410E
	v_mul_f32_e32 v161, v14, v161                              // 000000007E8C: 0B43430E
	v_mul_f32_e32 v162, v14, v162                              // 000000007E90: 0B45450E
	v_mul_f32_e32 v163, v14, v163                              // 000000007E94: 0B47470E
	v_mul_f32_dpp v160, v17, v160 row_newbcast:0 row_mask:0xf bank_mask:0xf// 000000007E98: 0B4140FA FF015011
	v_mul_f32_dpp v161, v17, v161 row_newbcast:1 row_mask:0xf bank_mask:0xf// 000000007EA0: 0B4342FA FF015111
	v_mul_f32_dpp v162, v17, v162 row_newbcast:2 row_mask:0xf bank_mask:0xf// 000000007EA8: 0B4544FA FF015211
	v_mul_f32_dpp v163, v17, v163 row_newbcast:3 row_mask:0xf bank_mask:0xf// 000000007EB0: 0B4746FA FF015311
	v_cvt_f32_i32_e32 v164, v164                               // 000000007EB8: 7F480BA4
	v_cvt_f32_i32_e32 v165, v165                               // 000000007EBC: 7F4A0BA5
	v_cvt_f32_i32_e32 v166, v166                               // 000000007EC0: 7F4C0BA6
	v_cvt_f32_i32_e32 v167, v167                               // 000000007EC4: 7F4E0BA7
	v_mul_f32_e32 v164, v15, v164                              // 000000007EC8: 0B49490F
	v_mul_f32_e32 v165, v15, v165                              // 000000007ECC: 0B4B4B0F
	v_mul_f32_e32 v166, v15, v166                              // 000000007ED0: 0B4D4D0F
	v_mul_f32_e32 v167, v15, v167                              // 000000007ED4: 0B4F4F0F
	v_mul_f32_dpp v164, v17, v164 row_newbcast:0 row_mask:0xf bank_mask:0xf// 000000007ED8: 0B4948FA FF015011
	v_mul_f32_dpp v165, v17, v165 row_newbcast:1 row_mask:0xf bank_mask:0xf// 000000007EE0: 0B4B4AFA FF015111
	v_mul_f32_dpp v166, v17, v166 row_newbcast:2 row_mask:0xf bank_mask:0xf// 000000007EE8: 0B4D4CFA FF015211
	v_mul_f32_dpp v167, v17, v167 row_newbcast:3 row_mask:0xf bank_mask:0xf// 000000007EF0: 0B4F4EFA FF015311
	v_cvt_f32_i32_e32 v168, v168                               // 000000007EF8: 7F500BA8
	v_cvt_f32_i32_e32 v169, v169                               // 000000007EFC: 7F520BA9
	v_cvt_f32_i32_e32 v170, v170                               // 000000007F00: 7F540BAA
	v_cvt_f32_i32_e32 v171, v171                               // 000000007F04: 7F560BAB
	v_mul_f32_e32 v168, v14, v168                              // 000000007F08: 0B51510E
	v_mul_f32_e32 v169, v14, v169                              // 000000007F0C: 0B53530E
	v_mul_f32_e32 v170, v14, v170                              // 000000007F10: 0B55550E
	v_mul_f32_e32 v171, v14, v171                              // 000000007F14: 0B57570E
	v_mul_f32_dpp v168, v17, v168 row_newbcast:4 row_mask:0xf bank_mask:0xf// 000000007F18: 0B5150FA FF015411
	v_mul_f32_dpp v169, v17, v169 row_newbcast:5 row_mask:0xf bank_mask:0xf// 000000007F20: 0B5352FA FF015511
	v_mul_f32_dpp v170, v17, v170 row_newbcast:6 row_mask:0xf bank_mask:0xf// 000000007F28: 0B5554FA FF015611
	v_mul_f32_dpp v171, v17, v171 row_newbcast:7 row_mask:0xf bank_mask:0xf// 000000007F30: 0B5756FA FF015711
	v_cvt_f32_i32_e32 v172, v172                               // 000000007F38: 7F580BAC
	v_cvt_f32_i32_e32 v173, v173                               // 000000007F3C: 7F5A0BAD
	v_cvt_f32_i32_e32 v174, v174                               // 000000007F40: 7F5C0BAE
	v_cvt_f32_i32_e32 v175, v175                               // 000000007F44: 7F5E0BAF
	v_mul_f32_e32 v172, v15, v172                              // 000000007F48: 0B59590F
	v_mul_f32_e32 v173, v15, v173                              // 000000007F4C: 0B5B5B0F
	v_mul_f32_e32 v174, v15, v174                              // 000000007F50: 0B5D5D0F
	v_mul_f32_e32 v175, v15, v175                              // 000000007F54: 0B5F5F0F
	v_mul_f32_dpp v172, v17, v172 row_newbcast:4 row_mask:0xf bank_mask:0xf// 000000007F58: 0B5958FA FF015411
	v_mul_f32_dpp v173, v17, v173 row_newbcast:5 row_mask:0xf bank_mask:0xf// 000000007F60: 0B5B5AFA FF015511
	v_mul_f32_dpp v174, v17, v174 row_newbcast:6 row_mask:0xf bank_mask:0xf// 000000007F68: 0B5D5CFA FF015611
	v_mul_f32_dpp v175, v17, v175 row_newbcast:7 row_mask:0xf bank_mask:0xf// 000000007F70: 0B5F5EFA FF015711
	v_cvt_f32_i32_e32 v176, v176                               // 000000007F78: 7F600BB0
	v_cvt_f32_i32_e32 v177, v177                               // 000000007F7C: 7F620BB1
	v_cvt_f32_i32_e32 v178, v178                               // 000000007F80: 7F640BB2
	v_cvt_f32_i32_e32 v179, v179                               // 000000007F84: 7F660BB3
	v_mul_f32_e32 v176, v14, v176                              // 000000007F88: 0B61610E
	v_mul_f32_e32 v177, v14, v177                              // 000000007F8C: 0B63630E
	v_mul_f32_e32 v178, v14, v178                              // 000000007F90: 0B65650E
	v_mul_f32_e32 v179, v14, v179                              // 000000007F94: 0B67670E
	v_mul_f32_dpp v176, v17, v176 row_newbcast:8 row_mask:0xf bank_mask:0xf// 000000007F98: 0B6160FA FF015811
	v_mul_f32_dpp v177, v17, v177 row_newbcast:9 row_mask:0xf bank_mask:0xf// 000000007FA0: 0B6362FA FF015911
	v_mul_f32_dpp v178, v17, v178 row_newbcast:10 row_mask:0xf bank_mask:0xf// 000000007FA8: 0B6564FA FF015A11
	v_mul_f32_dpp v179, v17, v179 row_newbcast:11 row_mask:0xf bank_mask:0xf// 000000007FB0: 0B6766FA FF015B11
	v_cvt_f32_i32_e32 v180, v180                               // 000000007FB8: 7F680BB4
	v_cvt_f32_i32_e32 v181, v181                               // 000000007FBC: 7F6A0BB5
	v_cvt_f32_i32_e32 v182, v182                               // 000000007FC0: 7F6C0BB6
	v_cvt_f32_i32_e32 v183, v183                               // 000000007FC4: 7F6E0BB7
	v_mul_f32_e32 v180, v15, v180                              // 000000007FC8: 0B69690F
	v_mul_f32_e32 v181, v15, v181                              // 000000007FCC: 0B6B6B0F
	v_mul_f32_e32 v182, v15, v182                              // 000000007FD0: 0B6D6D0F
	v_mul_f32_e32 v183, v15, v183                              // 000000007FD4: 0B6F6F0F
	v_mul_f32_dpp v180, v17, v180 row_newbcast:8 row_mask:0xf bank_mask:0xf// 000000007FD8: 0B6968FA FF015811
	v_mul_f32_dpp v181, v17, v181 row_newbcast:9 row_mask:0xf bank_mask:0xf// 000000007FE0: 0B6B6AFA FF015911
	v_mul_f32_dpp v182, v17, v182 row_newbcast:10 row_mask:0xf bank_mask:0xf// 000000007FE8: 0B6D6CFA FF015A11
	v_mul_f32_dpp v183, v17, v183 row_newbcast:11 row_mask:0xf bank_mask:0xf// 000000007FF0: 0B6F6EFA FF015B11
	s_waitcnt vmcnt(24)                                        // 000000007FF8: BF8C4F78
	buffer_load_dwordx4 a[0:3], v41, s[12:15], 0 offen         // 000000007FFC: E05C1000 80830029
	v_mul_f32_e32 v50, v128, v128                              // 000000008004: 0A650180
	v_mul_f32_e32 v51, v129, v129                              // 000000008008: 0A670381
	v_mul_f32_e32 v52, v130, v130                              // 00000000800C: 0A690582
	v_mul_f32_e32 v53, v131, v131                              // 000000008010: 0A6B0783
	v_fma_f32 v50, v50, s77, v1                                // 000000008014: D1CB0032 04049B32
	v_fma_f32 v51, v51, s77, v1                                // 00000000801C: D1CB0033 04049B33
	v_fma_f32 v52, v52, s77, v1                                // 000000008024: D1CB0034 04049B34
	v_fma_f32 v53, v53, s77, v1                                // 00000000802C: D1CB0035 04049B35
	v_mul_f32_e32 v50, v50, v128                               // 000000008034: 0A650132
	v_mul_f32_e32 v51, v51, v129                               // 000000008038: 0A670333
	v_mul_f32_e32 v52, v52, v130                               // 00000000803C: 0A690534
	v_mul_f32_e32 v53, v53, v131                               // 000000008040: 0A6B0735
	v_mul_f32_e64 v50, v50, s6                                 // 000000008044: D1050032 00000D32
	v_mul_f32_e64 v51, v51, s6                                 // 00000000804C: D1050033 00000D33
	v_mul_f32_e64 v52, v52, s6                                 // 000000008054: D1050034 00000D34
	v_mul_f32_e64 v53, v53, s6                                 // 00000000805C: D1050035 00000D35
	v_exp_f32_e32 v50, v50                                     // 000000008064: 7E644132
	v_exp_f32_e32 v51, v51                                     // 000000008068: 7E664133
	v_exp_f32_e32 v52, v52                                     // 00000000806C: 7E684134
	v_exp_f32_e32 v53, v53                                     // 000000008070: 7E6A4135
	buffer_load_dwordx4 a[4:7], v42, s[12:15], 0 offen         // 000000008074: E05C1000 8083042A
	v_add_f32_e64 v50, v50, 1.0                                // 00000000807C: D1010032 0001E532
	v_add_f32_e64 v51, v51, 1.0                                // 000000008084: D1010033 0001E533
	v_add_f32_e64 v52, v52, 1.0                                // 00000000808C: D1010034 0001E534
	v_add_f32_e64 v53, v53, 1.0                                // 000000008094: D1010035 0001E535
	v_rcp_f32_e32 v50, v50                                     // 00000000809C: 7E644532
	v_rcp_f32_e32 v51, v51                                     // 0000000080A0: 7E664533
	v_rcp_f32_e32 v52, v52                                     // 0000000080A4: 7E684534
	v_rcp_f32_e32 v53, v53                                     // 0000000080A8: 7E6A4535
	v_mul_f32_e32 v128, v128, v50                              // 0000000080AC: 0B006580
	v_mul_f32_e32 v129, v129, v51                              // 0000000080B0: 0B026781
	v_mul_f32_e32 v130, v130, v52                              // 0000000080B4: 0B046982
	v_mul_f32_e32 v131, v131, v53                              // 0000000080B8: 0B066B83
	buffer_load_dwordx4 a[8:11], v43, s[12:15], 0 offen        // 0000000080BC: E05C1000 8083082B
	v_mul_f32_e32 v50, v132, v132                              // 0000000080C4: 0A650984
	v_mul_f32_e32 v51, v133, v133                              // 0000000080C8: 0A670B85
	v_mul_f32_e32 v52, v134, v134                              // 0000000080CC: 0A690D86
	v_mul_f32_e32 v53, v135, v135                              // 0000000080D0: 0A6B0F87
	v_fma_f32 v50, v50, s77, v1                                // 0000000080D4: D1CB0032 04049B32
	v_fma_f32 v51, v51, s77, v1                                // 0000000080DC: D1CB0033 04049B33
	v_fma_f32 v52, v52, s77, v1                                // 0000000080E4: D1CB0034 04049B34
	v_fma_f32 v53, v53, s77, v1                                // 0000000080EC: D1CB0035 04049B35
	v_mul_f32_e32 v50, v50, v132                               // 0000000080F4: 0A650932
	v_mul_f32_e32 v51, v51, v133                               // 0000000080F8: 0A670B33
	v_mul_f32_e32 v52, v52, v134                               // 0000000080FC: 0A690D34
	v_mul_f32_e32 v53, v53, v135                               // 000000008100: 0A6B0F35
	v_mul_f32_e64 v50, v50, s6                                 // 000000008104: D1050032 00000D32
	v_mul_f32_e64 v51, v51, s6                                 // 00000000810C: D1050033 00000D33
	v_mul_f32_e64 v52, v52, s6                                 // 000000008114: D1050034 00000D34
	v_mul_f32_e64 v53, v53, s6                                 // 00000000811C: D1050035 00000D35
	v_exp_f32_e32 v50, v50                                     // 000000008124: 7E644132
	v_exp_f32_e32 v51, v51                                     // 000000008128: 7E664133
	v_exp_f32_e32 v52, v52                                     // 00000000812C: 7E684134
	v_exp_f32_e32 v53, v53                                     // 000000008130: 7E6A4135
	buffer_load_dwordx4 a[12:15], v44, s[12:15], 0 offen       // 000000008134: E05C1000 80830C2C
	s_add_u32 s12, s78, s12                                    // 00000000813C: 800C0C4E
	s_addc_u32 s13, 0, s13                                     // 000000008140: 820D0D80
	v_add_f32_e64 v50, v50, 1.0                                // 000000008144: D1010032 0001E532
	v_add_f32_e64 v51, v51, 1.0                                // 00000000814C: D1010033 0001E533
	v_add_f32_e64 v52, v52, 1.0                                // 000000008154: D1010034 0001E534
	v_add_f32_e64 v53, v53, 1.0                                // 00000000815C: D1010035 0001E535
	v_rcp_f32_e32 v50, v50                                     // 000000008164: 7E644532
	v_rcp_f32_e32 v51, v51                                     // 000000008168: 7E664533
	v_rcp_f32_e32 v52, v52                                     // 00000000816C: 7E684534
	v_rcp_f32_e32 v53, v53                                     // 000000008170: 7E6A4535
	v_mul_f32_e32 v132, v132, v50                              // 000000008174: 0B086584
	v_mul_f32_e32 v133, v133, v51                              // 000000008178: 0B0A6785
	v_mul_f32_e32 v134, v134, v52                              // 00000000817C: 0B0C6986
	v_mul_f32_e32 v135, v135, v53                              // 000000008180: 0B0E6B87
	s_waitcnt vmcnt(24)                                        // 000000008184: BF8C4F78
	buffer_load_dwordx4 a[16:19], v41, s[12:15], 0 offen       // 000000008188: E05C1000 80831029
	v_mul_f32_e32 v50, v136, v136                              // 000000008190: 0A651188
	v_mul_f32_e32 v51, v137, v137                              // 000000008194: 0A671389
	v_mul_f32_e32 v52, v138, v138                              // 000000008198: 0A69158A
	v_mul_f32_e32 v53, v139, v139                              // 00000000819C: 0A6B178B
	v_fma_f32 v50, v50, s77, v1                                // 0000000081A0: D1CB0032 04049B32
	v_fma_f32 v51, v51, s77, v1                                // 0000000081A8: D1CB0033 04049B33
	v_fma_f32 v52, v52, s77, v1                                // 0000000081B0: D1CB0034 04049B34
	v_fma_f32 v53, v53, s77, v1                                // 0000000081B8: D1CB0035 04049B35
	v_mul_f32_e32 v50, v50, v136                               // 0000000081C0: 0A651132
	v_mul_f32_e32 v51, v51, v137                               // 0000000081C4: 0A671333
	v_mul_f32_e32 v52, v52, v138                               // 0000000081C8: 0A691534
	v_mul_f32_e32 v53, v53, v139                               // 0000000081CC: 0A6B1735
	v_mul_f32_e64 v50, v50, s6                                 // 0000000081D0: D1050032 00000D32
	v_mul_f32_e64 v51, v51, s6                                 // 0000000081D8: D1050033 00000D33
	v_mul_f32_e64 v52, v52, s6                                 // 0000000081E0: D1050034 00000D34
	v_mul_f32_e64 v53, v53, s6                                 // 0000000081E8: D1050035 00000D35
	v_exp_f32_e32 v50, v50                                     // 0000000081F0: 7E644132
	v_exp_f32_e32 v51, v51                                     // 0000000081F4: 7E664133
	v_exp_f32_e32 v52, v52                                     // 0000000081F8: 7E684134
	v_exp_f32_e32 v53, v53                                     // 0000000081FC: 7E6A4135
	buffer_load_dwordx4 a[20:23], v42, s[12:15], 0 offen       // 000000008200: E05C1000 8083142A
	v_add_f32_e64 v50, v50, 1.0                                // 000000008208: D1010032 0001E532
	v_add_f32_e64 v51, v51, 1.0                                // 000000008210: D1010033 0001E533
	v_add_f32_e64 v52, v52, 1.0                                // 000000008218: D1010034 0001E534
	v_add_f32_e64 v53, v53, 1.0                                // 000000008220: D1010035 0001E535
	v_rcp_f32_e32 v50, v50                                     // 000000008228: 7E644532
	v_rcp_f32_e32 v51, v51                                     // 00000000822C: 7E664533
	v_rcp_f32_e32 v52, v52                                     // 000000008230: 7E684534
	v_rcp_f32_e32 v53, v53                                     // 000000008234: 7E6A4535
	v_mul_f32_e32 v136, v136, v50                              // 000000008238: 0B106588
	v_mul_f32_e32 v137, v137, v51                              // 00000000823C: 0B126789
	v_mul_f32_e32 v138, v138, v52                              // 000000008240: 0B14698A
	v_mul_f32_e32 v139, v139, v53                              // 000000008244: 0B166B8B
	buffer_load_dwordx4 a[24:27], v43, s[12:15], 0 offen       // 000000008248: E05C1000 8083182B
	v_mul_f32_e32 v50, v140, v140                              // 000000008250: 0A65198C
	v_mul_f32_e32 v51, v141, v141                              // 000000008254: 0A671B8D
	v_mul_f32_e32 v52, v142, v142                              // 000000008258: 0A691D8E
	v_mul_f32_e32 v53, v143, v143                              // 00000000825C: 0A6B1F8F
	v_fma_f32 v50, v50, s77, v1                                // 000000008260: D1CB0032 04049B32
	v_fma_f32 v51, v51, s77, v1                                // 000000008268: D1CB0033 04049B33
	v_fma_f32 v52, v52, s77, v1                                // 000000008270: D1CB0034 04049B34
	v_fma_f32 v53, v53, s77, v1                                // 000000008278: D1CB0035 04049B35
	v_mul_f32_e32 v50, v50, v140                               // 000000008280: 0A651932
	v_mul_f32_e32 v51, v51, v141                               // 000000008284: 0A671B33
	v_mul_f32_e32 v52, v52, v142                               // 000000008288: 0A691D34
	v_mul_f32_e32 v53, v53, v143                               // 00000000828C: 0A6B1F35
	v_mul_f32_e64 v50, v50, s6                                 // 000000008290: D1050032 00000D32
	v_mul_f32_e64 v51, v51, s6                                 // 000000008298: D1050033 00000D33
	v_mul_f32_e64 v52, v52, s6                                 // 0000000082A0: D1050034 00000D34
	v_mul_f32_e64 v53, v53, s6                                 // 0000000082A8: D1050035 00000D35
	v_exp_f32_e32 v50, v50                                     // 0000000082B0: 7E644132
	v_exp_f32_e32 v51, v51                                     // 0000000082B4: 7E664133
	v_exp_f32_e32 v52, v52                                     // 0000000082B8: 7E684134
	v_exp_f32_e32 v53, v53                                     // 0000000082BC: 7E6A4135
	buffer_load_dwordx4 a[28:31], v44, s[12:15], 0 offen       // 0000000082C0: E05C1000 80831C2C
	s_add_u32 s12, s78, s12                                    // 0000000082C8: 800C0C4E
	s_addc_u32 s13, 0, s13                                     // 0000000082CC: 820D0D80
	v_add_f32_e64 v50, v50, 1.0                                // 0000000082D0: D1010032 0001E532
	v_add_f32_e64 v51, v51, 1.0                                // 0000000082D8: D1010033 0001E533
	v_add_f32_e64 v52, v52, 1.0                                // 0000000082E0: D1010034 0001E534
	v_add_f32_e64 v53, v53, 1.0                                // 0000000082E8: D1010035 0001E535
	v_rcp_f32_e32 v50, v50                                     // 0000000082F0: 7E644532
	v_rcp_f32_e32 v51, v51                                     // 0000000082F4: 7E664533
	v_rcp_f32_e32 v52, v52                                     // 0000000082F8: 7E684534
	v_rcp_f32_e32 v53, v53                                     // 0000000082FC: 7E6A4535
	v_mul_f32_e32 v140, v140, v50                              // 000000008300: 0B18658C
	v_mul_f32_e32 v141, v141, v51                              // 000000008304: 0B1A678D
	v_mul_f32_e32 v142, v142, v52                              // 000000008308: 0B1C698E
	v_mul_f32_e32 v143, v143, v53                              // 00000000830C: 0B1E6B8F
	s_waitcnt vmcnt(24)                                        // 000000008310: BF8C4F78
	buffer_load_dwordx4 a[32:35], v41, s[12:15], 0 offen       // 000000008314: E05C1000 80832029
	v_mul_f32_e32 v50, v144, v144                              // 00000000831C: 0A652190
	v_mul_f32_e32 v51, v145, v145                              // 000000008320: 0A672391
	v_mul_f32_e32 v52, v146, v146                              // 000000008324: 0A692592
	v_mul_f32_e32 v53, v147, v147                              // 000000008328: 0A6B2793
	v_fma_f32 v50, v50, s77, v1                                // 00000000832C: D1CB0032 04049B32
	v_fma_f32 v51, v51, s77, v1                                // 000000008334: D1CB0033 04049B33
	v_fma_f32 v52, v52, s77, v1                                // 00000000833C: D1CB0034 04049B34
	v_fma_f32 v53, v53, s77, v1                                // 000000008344: D1CB0035 04049B35
	v_mul_f32_e32 v50, v50, v144                               // 00000000834C: 0A652132
	v_mul_f32_e32 v51, v51, v145                               // 000000008350: 0A672333
	v_mul_f32_e32 v52, v52, v146                               // 000000008354: 0A692534
	v_mul_f32_e32 v53, v53, v147                               // 000000008358: 0A6B2735
	v_mul_f32_e64 v50, v50, s6                                 // 00000000835C: D1050032 00000D32
	v_mul_f32_e64 v51, v51, s6                                 // 000000008364: D1050033 00000D33
	v_mul_f32_e64 v52, v52, s6                                 // 00000000836C: D1050034 00000D34
	v_mul_f32_e64 v53, v53, s6                                 // 000000008374: D1050035 00000D35
	v_exp_f32_e32 v50, v50                                     // 00000000837C: 7E644132
	v_exp_f32_e32 v51, v51                                     // 000000008380: 7E664133
	v_exp_f32_e32 v52, v52                                     // 000000008384: 7E684134
	v_exp_f32_e32 v53, v53                                     // 000000008388: 7E6A4135
	buffer_load_dwordx4 a[36:39], v42, s[12:15], 0 offen       // 00000000838C: E05C1000 8083242A
	v_add_f32_e64 v50, v50, 1.0                                // 000000008394: D1010032 0001E532
	v_add_f32_e64 v51, v51, 1.0                                // 00000000839C: D1010033 0001E533
	v_add_f32_e64 v52, v52, 1.0                                // 0000000083A4: D1010034 0001E534
	v_add_f32_e64 v53, v53, 1.0                                // 0000000083AC: D1010035 0001E535
	v_rcp_f32_e32 v50, v50                                     // 0000000083B4: 7E644532
	v_rcp_f32_e32 v51, v51                                     // 0000000083B8: 7E664533
	v_rcp_f32_e32 v52, v52                                     // 0000000083BC: 7E684534
	v_rcp_f32_e32 v53, v53                                     // 0000000083C0: 7E6A4535
	v_mul_f32_e32 v144, v144, v50                              // 0000000083C4: 0B206590
	v_mul_f32_e32 v145, v145, v51                              // 0000000083C8: 0B226791
	v_mul_f32_e32 v146, v146, v52                              // 0000000083CC: 0B246992
	v_mul_f32_e32 v147, v147, v53                              // 0000000083D0: 0B266B93
	buffer_load_dwordx4 a[40:43], v43, s[12:15], 0 offen       // 0000000083D4: E05C1000 8083282B
	v_mul_f32_e32 v50, v148, v148                              // 0000000083DC: 0A652994
	v_mul_f32_e32 v51, v149, v149                              // 0000000083E0: 0A672B95
	v_mul_f32_e32 v52, v150, v150                              // 0000000083E4: 0A692D96
	v_mul_f32_e32 v53, v151, v151                              // 0000000083E8: 0A6B2F97
	v_fma_f32 v50, v50, s77, v1                                // 0000000083EC: D1CB0032 04049B32
	v_fma_f32 v51, v51, s77, v1                                // 0000000083F4: D1CB0033 04049B33
	v_fma_f32 v52, v52, s77, v1                                // 0000000083FC: D1CB0034 04049B34
	v_fma_f32 v53, v53, s77, v1                                // 000000008404: D1CB0035 04049B35
	v_mul_f32_e32 v50, v50, v148                               // 00000000840C: 0A652932
	v_mul_f32_e32 v51, v51, v149                               // 000000008410: 0A672B33
	v_mul_f32_e32 v52, v52, v150                               // 000000008414: 0A692D34
	v_mul_f32_e32 v53, v53, v151                               // 000000008418: 0A6B2F35
	v_mul_f32_e64 v50, v50, s6                                 // 00000000841C: D1050032 00000D32
	v_mul_f32_e64 v51, v51, s6                                 // 000000008424: D1050033 00000D33
	v_mul_f32_e64 v52, v52, s6                                 // 00000000842C: D1050034 00000D34
	v_mul_f32_e64 v53, v53, s6                                 // 000000008434: D1050035 00000D35
	v_exp_f32_e32 v50, v50                                     // 00000000843C: 7E644132
	v_exp_f32_e32 v51, v51                                     // 000000008440: 7E664133
	v_exp_f32_e32 v52, v52                                     // 000000008444: 7E684134
	v_exp_f32_e32 v53, v53                                     // 000000008448: 7E6A4135
	buffer_load_dwordx4 a[44:47], v44, s[12:15], 0 offen       // 00000000844C: E05C1000 80832C2C
	s_add_u32 s12, s78, s12                                    // 000000008454: 800C0C4E
	s_addc_u32 s13, 0, s13                                     // 000000008458: 820D0D80
	v_add_f32_e64 v50, v50, 1.0                                // 00000000845C: D1010032 0001E532
	v_add_f32_e64 v51, v51, 1.0                                // 000000008464: D1010033 0001E533
	v_add_f32_e64 v52, v52, 1.0                                // 00000000846C: D1010034 0001E534
	v_add_f32_e64 v53, v53, 1.0                                // 000000008474: D1010035 0001E535
	v_rcp_f32_e32 v50, v50                                     // 00000000847C: 7E644532
	v_rcp_f32_e32 v51, v51                                     // 000000008480: 7E664533
	v_rcp_f32_e32 v52, v52                                     // 000000008484: 7E684534
	v_rcp_f32_e32 v53, v53                                     // 000000008488: 7E6A4535
	v_mul_f32_e32 v148, v148, v50                              // 00000000848C: 0B286594
	v_mul_f32_e32 v149, v149, v51                              // 000000008490: 0B2A6795
	v_mul_f32_e32 v150, v150, v52                              // 000000008494: 0B2C6996
	v_mul_f32_e32 v151, v151, v53                              // 000000008498: 0B2E6B97
	s_waitcnt vmcnt(24)                                        // 00000000849C: BF8C4F78
	buffer_load_dwordx4 a[48:51], v41, s[12:15], 0 offen       // 0000000084A0: E05C1000 80833029
	v_mul_f32_e32 v50, v152, v152                              // 0000000084A8: 0A653198
	v_mul_f32_e32 v51, v153, v153                              // 0000000084AC: 0A673399
	v_mul_f32_e32 v52, v154, v154                              // 0000000084B0: 0A69359A
	v_mul_f32_e32 v53, v155, v155                              // 0000000084B4: 0A6B379B
	v_fma_f32 v50, v50, s77, v1                                // 0000000084B8: D1CB0032 04049B32
	v_fma_f32 v51, v51, s77, v1                                // 0000000084C0: D1CB0033 04049B33
	v_fma_f32 v52, v52, s77, v1                                // 0000000084C8: D1CB0034 04049B34
	v_fma_f32 v53, v53, s77, v1                                // 0000000084D0: D1CB0035 04049B35
	v_mul_f32_e32 v50, v50, v152                               // 0000000084D8: 0A653132
	v_mul_f32_e32 v51, v51, v153                               // 0000000084DC: 0A673333
	v_mul_f32_e32 v52, v52, v154                               // 0000000084E0: 0A693534
	v_mul_f32_e32 v53, v53, v155                               // 0000000084E4: 0A6B3735
	v_mul_f32_e64 v50, v50, s6                                 // 0000000084E8: D1050032 00000D32
	v_mul_f32_e64 v51, v51, s6                                 // 0000000084F0: D1050033 00000D33
	v_mul_f32_e64 v52, v52, s6                                 // 0000000084F8: D1050034 00000D34
	v_mul_f32_e64 v53, v53, s6                                 // 000000008500: D1050035 00000D35
	v_exp_f32_e32 v50, v50                                     // 000000008508: 7E644132
	v_exp_f32_e32 v51, v51                                     // 00000000850C: 7E664133
	v_exp_f32_e32 v52, v52                                     // 000000008510: 7E684134
	v_exp_f32_e32 v53, v53                                     // 000000008514: 7E6A4135
	buffer_load_dwordx4 a[52:55], v42, s[12:15], 0 offen       // 000000008518: E05C1000 8083342A
	v_add_f32_e64 v50, v50, 1.0                                // 000000008520: D1010032 0001E532
	v_add_f32_e64 v51, v51, 1.0                                // 000000008528: D1010033 0001E533
	v_add_f32_e64 v52, v52, 1.0                                // 000000008530: D1010034 0001E534
	v_add_f32_e64 v53, v53, 1.0                                // 000000008538: D1010035 0001E535
	v_rcp_f32_e32 v50, v50                                     // 000000008540: 7E644532
	v_rcp_f32_e32 v51, v51                                     // 000000008544: 7E664533
	v_rcp_f32_e32 v52, v52                                     // 000000008548: 7E684534
	v_rcp_f32_e32 v53, v53                                     // 00000000854C: 7E6A4535
	v_mul_f32_e32 v152, v152, v50                              // 000000008550: 0B306598
	v_mul_f32_e32 v153, v153, v51                              // 000000008554: 0B326799
	v_mul_f32_e32 v154, v154, v52                              // 000000008558: 0B34699A
	v_mul_f32_e32 v155, v155, v53                              // 00000000855C: 0B366B9B
	buffer_load_dwordx4 a[56:59], v43, s[12:15], 0 offen       // 000000008560: E05C1000 8083382B
	v_mul_f32_e32 v50, v156, v156                              // 000000008568: 0A65399C
	v_mul_f32_e32 v51, v157, v157                              // 00000000856C: 0A673B9D
	v_mul_f32_e32 v52, v158, v158                              // 000000008570: 0A693D9E
	v_mul_f32_e32 v53, v159, v159                              // 000000008574: 0A6B3F9F
	v_fma_f32 v50, v50, s77, v1                                // 000000008578: D1CB0032 04049B32
	v_fma_f32 v51, v51, s77, v1                                // 000000008580: D1CB0033 04049B33
	v_fma_f32 v52, v52, s77, v1                                // 000000008588: D1CB0034 04049B34
	v_fma_f32 v53, v53, s77, v1                                // 000000008590: D1CB0035 04049B35
	v_mul_f32_e32 v50, v50, v156                               // 000000008598: 0A653932
	v_mul_f32_e32 v51, v51, v157                               // 00000000859C: 0A673B33
	v_mul_f32_e32 v52, v52, v158                               // 0000000085A0: 0A693D34
	v_mul_f32_e32 v53, v53, v159                               // 0000000085A4: 0A6B3F35
	v_mul_f32_e64 v50, v50, s6                                 // 0000000085A8: D1050032 00000D32
	v_mul_f32_e64 v51, v51, s6                                 // 0000000085B0: D1050033 00000D33
	v_mul_f32_e64 v52, v52, s6                                 // 0000000085B8: D1050034 00000D34
	v_mul_f32_e64 v53, v53, s6                                 // 0000000085C0: D1050035 00000D35
	v_exp_f32_e32 v50, v50                                     // 0000000085C8: 7E644132
	v_exp_f32_e32 v51, v51                                     // 0000000085CC: 7E664133
	v_exp_f32_e32 v52, v52                                     // 0000000085D0: 7E684134
	v_exp_f32_e32 v53, v53                                     // 0000000085D4: 7E6A4135
	buffer_load_dwordx4 a[60:63], v44, s[12:15], 0 offen       // 0000000085D8: E05C1000 80833C2C
	s_add_u32 s12, s78, s12                                    // 0000000085E0: 800C0C4E
	s_addc_u32 s13, 0, s13                                     // 0000000085E4: 820D0D80
	v_add_f32_e64 v50, v50, 1.0                                // 0000000085E8: D1010032 0001E532
	v_add_f32_e64 v51, v51, 1.0                                // 0000000085F0: D1010033 0001E533
	v_add_f32_e64 v52, v52, 1.0                                // 0000000085F8: D1010034 0001E534
	v_add_f32_e64 v53, v53, 1.0                                // 000000008600: D1010035 0001E535
	v_rcp_f32_e32 v50, v50                                     // 000000008608: 7E644532
	v_rcp_f32_e32 v51, v51                                     // 00000000860C: 7E664533
	v_rcp_f32_e32 v52, v52                                     // 000000008610: 7E684534
	v_rcp_f32_e32 v53, v53                                     // 000000008614: 7E6A4535
	v_mul_f32_e32 v156, v156, v50                              // 000000008618: 0B38659C
	v_mul_f32_e32 v157, v157, v51                              // 00000000861C: 0B3A679D
	v_mul_f32_e32 v158, v158, v52                              // 000000008620: 0B3C699E
	v_mul_f32_e32 v159, v159, v53                              // 000000008624: 0B3E6B9F
	s_waitcnt vmcnt(24)                                        // 000000008628: BF8C4F78
	buffer_load_dwordx4 a[64:67], v41, s[12:15], 0 offen       // 00000000862C: E05C1000 80834029
	v_mul_f32_e32 v50, v160, v160                              // 000000008634: 0A6541A0
	v_mul_f32_e32 v51, v161, v161                              // 000000008638: 0A6743A1
	v_mul_f32_e32 v52, v162, v162                              // 00000000863C: 0A6945A2
	v_mul_f32_e32 v53, v163, v163                              // 000000008640: 0A6B47A3
	v_fma_f32 v50, v50, s77, v1                                // 000000008644: D1CB0032 04049B32
	v_fma_f32 v51, v51, s77, v1                                // 00000000864C: D1CB0033 04049B33
	v_fma_f32 v52, v52, s77, v1                                // 000000008654: D1CB0034 04049B34
	v_fma_f32 v53, v53, s77, v1                                // 00000000865C: D1CB0035 04049B35
	v_mul_f32_e32 v50, v50, v160                               // 000000008664: 0A654132
	v_mul_f32_e32 v51, v51, v161                               // 000000008668: 0A674333
	v_mul_f32_e32 v52, v52, v162                               // 00000000866C: 0A694534
	v_mul_f32_e32 v53, v53, v163                               // 000000008670: 0A6B4735
	v_mul_f32_e64 v50, v50, s6                                 // 000000008674: D1050032 00000D32
	v_mul_f32_e64 v51, v51, s6                                 // 00000000867C: D1050033 00000D33
	v_mul_f32_e64 v52, v52, s6                                 // 000000008684: D1050034 00000D34
	v_mul_f32_e64 v53, v53, s6                                 // 00000000868C: D1050035 00000D35
	v_exp_f32_e32 v50, v50                                     // 000000008694: 7E644132
	v_exp_f32_e32 v51, v51                                     // 000000008698: 7E664133
	v_exp_f32_e32 v52, v52                                     // 00000000869C: 7E684134
	v_exp_f32_e32 v53, v53                                     // 0000000086A0: 7E6A4135
	buffer_load_dwordx4 a[68:71], v42, s[12:15], 0 offen       // 0000000086A4: E05C1000 8083442A
	v_add_f32_e64 v50, v50, 1.0                                // 0000000086AC: D1010032 0001E532
	v_add_f32_e64 v51, v51, 1.0                                // 0000000086B4: D1010033 0001E533
	v_add_f32_e64 v52, v52, 1.0                                // 0000000086BC: D1010034 0001E534
	v_add_f32_e64 v53, v53, 1.0                                // 0000000086C4: D1010035 0001E535
	v_rcp_f32_e32 v50, v50                                     // 0000000086CC: 7E644532
	v_rcp_f32_e32 v51, v51                                     // 0000000086D0: 7E664533
	v_rcp_f32_e32 v52, v52                                     // 0000000086D4: 7E684534
	v_rcp_f32_e32 v53, v53                                     // 0000000086D8: 7E6A4535
	v_mul_f32_e32 v160, v160, v50                              // 0000000086DC: 0B4065A0
	v_mul_f32_e32 v161, v161, v51                              // 0000000086E0: 0B4267A1
	v_mul_f32_e32 v162, v162, v52                              // 0000000086E4: 0B4469A2
	v_mul_f32_e32 v163, v163, v53                              // 0000000086E8: 0B466BA3
	buffer_load_dwordx4 a[72:75], v43, s[12:15], 0 offen       // 0000000086EC: E05C1000 8083482B
	v_mul_f32_e32 v50, v164, v164                              // 0000000086F4: 0A6549A4
	v_mul_f32_e32 v51, v165, v165                              // 0000000086F8: 0A674BA5
	v_mul_f32_e32 v52, v166, v166                              // 0000000086FC: 0A694DA6
	v_mul_f32_e32 v53, v167, v167                              // 000000008700: 0A6B4FA7
	v_fma_f32 v50, v50, s77, v1                                // 000000008704: D1CB0032 04049B32
	v_fma_f32 v51, v51, s77, v1                                // 00000000870C: D1CB0033 04049B33
	v_fma_f32 v52, v52, s77, v1                                // 000000008714: D1CB0034 04049B34
	v_fma_f32 v53, v53, s77, v1                                // 00000000871C: D1CB0035 04049B35
	v_mul_f32_e32 v50, v50, v164                               // 000000008724: 0A654932
	v_mul_f32_e32 v51, v51, v165                               // 000000008728: 0A674B33
	v_mul_f32_e32 v52, v52, v166                               // 00000000872C: 0A694D34
	v_mul_f32_e32 v53, v53, v167                               // 000000008730: 0A6B4F35
	v_mul_f32_e64 v50, v50, s6                                 // 000000008734: D1050032 00000D32
	v_mul_f32_e64 v51, v51, s6                                 // 00000000873C: D1050033 00000D33
	v_mul_f32_e64 v52, v52, s6                                 // 000000008744: D1050034 00000D34
	v_mul_f32_e64 v53, v53, s6                                 // 00000000874C: D1050035 00000D35
	v_exp_f32_e32 v50, v50                                     // 000000008754: 7E644132
	v_exp_f32_e32 v51, v51                                     // 000000008758: 7E664133
	v_exp_f32_e32 v52, v52                                     // 00000000875C: 7E684134
	v_exp_f32_e32 v53, v53                                     // 000000008760: 7E6A4135
	buffer_load_dwordx4 a[76:79], v44, s[12:15], 0 offen       // 000000008764: E05C1000 80834C2C
	s_add_u32 s12, s78, s12                                    // 00000000876C: 800C0C4E
	s_addc_u32 s13, 0, s13                                     // 000000008770: 820D0D80
	v_add_f32_e64 v50, v50, 1.0                                // 000000008774: D1010032 0001E532
	v_add_f32_e64 v51, v51, 1.0                                // 00000000877C: D1010033 0001E533
	v_add_f32_e64 v52, v52, 1.0                                // 000000008784: D1010034 0001E534
	v_add_f32_e64 v53, v53, 1.0                                // 00000000878C: D1010035 0001E535
	v_rcp_f32_e32 v50, v50                                     // 000000008794: 7E644532
	v_rcp_f32_e32 v51, v51                                     // 000000008798: 7E664533
	v_rcp_f32_e32 v52, v52                                     // 00000000879C: 7E684534
	v_rcp_f32_e32 v53, v53                                     // 0000000087A0: 7E6A4535
	v_mul_f32_e32 v164, v164, v50                              // 0000000087A4: 0B4865A4
	v_mul_f32_e32 v165, v165, v51                              // 0000000087A8: 0B4A67A5
	v_mul_f32_e32 v166, v166, v52                              // 0000000087AC: 0B4C69A6
	v_mul_f32_e32 v167, v167, v53                              // 0000000087B0: 0B4E6BA7
	s_waitcnt vmcnt(24)                                        // 0000000087B4: BF8C4F78
	buffer_load_dwordx4 a[80:83], v41, s[12:15], 0 offen       // 0000000087B8: E05C1000 80835029
	v_mul_f32_e32 v50, v168, v168                              // 0000000087C0: 0A6551A8
	v_mul_f32_e32 v51, v169, v169                              // 0000000087C4: 0A6753A9
	v_mul_f32_e32 v52, v170, v170                              // 0000000087C8: 0A6955AA
	v_mul_f32_e32 v53, v171, v171                              // 0000000087CC: 0A6B57AB
	v_fma_f32 v50, v50, s77, v1                                // 0000000087D0: D1CB0032 04049B32
	v_fma_f32 v51, v51, s77, v1                                // 0000000087D8: D1CB0033 04049B33
	v_fma_f32 v52, v52, s77, v1                                // 0000000087E0: D1CB0034 04049B34
	v_fma_f32 v53, v53, s77, v1                                // 0000000087E8: D1CB0035 04049B35
	v_mul_f32_e32 v50, v50, v168                               // 0000000087F0: 0A655132
	v_mul_f32_e32 v51, v51, v169                               // 0000000087F4: 0A675333
	v_mul_f32_e32 v52, v52, v170                               // 0000000087F8: 0A695534
	v_mul_f32_e32 v53, v53, v171                               // 0000000087FC: 0A6B5735
	v_mul_f32_e64 v50, v50, s6                                 // 000000008800: D1050032 00000D32
	v_mul_f32_e64 v51, v51, s6                                 // 000000008808: D1050033 00000D33
	v_mul_f32_e64 v52, v52, s6                                 // 000000008810: D1050034 00000D34
	v_mul_f32_e64 v53, v53, s6                                 // 000000008818: D1050035 00000D35
	v_exp_f32_e32 v50, v50                                     // 000000008820: 7E644132
	v_exp_f32_e32 v51, v51                                     // 000000008824: 7E664133
	v_exp_f32_e32 v52, v52                                     // 000000008828: 7E684134
	v_exp_f32_e32 v53, v53                                     // 00000000882C: 7E6A4135
	buffer_load_dwordx4 a[84:87], v42, s[12:15], 0 offen       // 000000008830: E05C1000 8083542A
	v_add_f32_e64 v50, v50, 1.0                                // 000000008838: D1010032 0001E532
	v_add_f32_e64 v51, v51, 1.0                                // 000000008840: D1010033 0001E533
	v_add_f32_e64 v52, v52, 1.0                                // 000000008848: D1010034 0001E534
	v_add_f32_e64 v53, v53, 1.0                                // 000000008850: D1010035 0001E535
	v_rcp_f32_e32 v50, v50                                     // 000000008858: 7E644532
	v_rcp_f32_e32 v51, v51                                     // 00000000885C: 7E664533
	v_rcp_f32_e32 v52, v52                                     // 000000008860: 7E684534
	v_rcp_f32_e32 v53, v53                                     // 000000008864: 7E6A4535
	v_mul_f32_e32 v168, v168, v50                              // 000000008868: 0B5065A8
	v_mul_f32_e32 v169, v169, v51                              // 00000000886C: 0B5267A9
	v_mul_f32_e32 v170, v170, v52                              // 000000008870: 0B5469AA
	v_mul_f32_e32 v171, v171, v53                              // 000000008874: 0B566BAB
	buffer_load_dwordx4 a[88:91], v43, s[12:15], 0 offen       // 000000008878: E05C1000 8083582B
	v_mul_f32_e32 v50, v172, v172                              // 000000008880: 0A6559AC
	v_mul_f32_e32 v51, v173, v173                              // 000000008884: 0A675BAD
	v_mul_f32_e32 v52, v174, v174                              // 000000008888: 0A695DAE
	v_mul_f32_e32 v53, v175, v175                              // 00000000888C: 0A6B5FAF
	v_fma_f32 v50, v50, s77, v1                                // 000000008890: D1CB0032 04049B32
	v_fma_f32 v51, v51, s77, v1                                // 000000008898: D1CB0033 04049B33
	v_fma_f32 v52, v52, s77, v1                                // 0000000088A0: D1CB0034 04049B34
	v_fma_f32 v53, v53, s77, v1                                // 0000000088A8: D1CB0035 04049B35
	v_mul_f32_e32 v50, v50, v172                               // 0000000088B0: 0A655932
	v_mul_f32_e32 v51, v51, v173                               // 0000000088B4: 0A675B33
	v_mul_f32_e32 v52, v52, v174                               // 0000000088B8: 0A695D34
	v_mul_f32_e32 v53, v53, v175                               // 0000000088BC: 0A6B5F35
	v_mul_f32_e64 v50, v50, s6                                 // 0000000088C0: D1050032 00000D32
	v_mul_f32_e64 v51, v51, s6                                 // 0000000088C8: D1050033 00000D33
	v_mul_f32_e64 v52, v52, s6                                 // 0000000088D0: D1050034 00000D34
	v_mul_f32_e64 v53, v53, s6                                 // 0000000088D8: D1050035 00000D35
	v_exp_f32_e32 v50, v50                                     // 0000000088E0: 7E644132
	v_exp_f32_e32 v51, v51                                     // 0000000088E4: 7E664133
	v_exp_f32_e32 v52, v52                                     // 0000000088E8: 7E684134
	v_exp_f32_e32 v53, v53                                     // 0000000088EC: 7E6A4135
	buffer_load_dwordx4 a[92:95], v44, s[12:15], 0 offen       // 0000000088F0: E05C1000 80835C2C
	s_add_u32 s12, s78, s12                                    // 0000000088F8: 800C0C4E
	s_addc_u32 s13, 0, s13                                     // 0000000088FC: 820D0D80
	v_add_f32_e64 v50, v50, 1.0                                // 000000008900: D1010032 0001E532
	v_add_f32_e64 v51, v51, 1.0                                // 000000008908: D1010033 0001E533
	v_add_f32_e64 v52, v52, 1.0                                // 000000008910: D1010034 0001E534
	v_add_f32_e64 v53, v53, 1.0                                // 000000008918: D1010035 0001E535
	v_rcp_f32_e32 v50, v50                                     // 000000008920: 7E644532
	v_rcp_f32_e32 v51, v51                                     // 000000008924: 7E664533
	v_rcp_f32_e32 v52, v52                                     // 000000008928: 7E684534
	v_rcp_f32_e32 v53, v53                                     // 00000000892C: 7E6A4535
	v_mul_f32_e32 v172, v172, v50                              // 000000008930: 0B5865AC
	v_mul_f32_e32 v173, v173, v51                              // 000000008934: 0B5A67AD
	v_mul_f32_e32 v174, v174, v52                              // 000000008938: 0B5C69AE
	v_mul_f32_e32 v175, v175, v53                              // 00000000893C: 0B5E6BAF
	s_waitcnt vmcnt(24)                                        // 000000008940: BF8C4F78
	buffer_load_dwordx4 a[96:99], v41, s[12:15], 0 offen       // 000000008944: E05C1000 80836029
	v_mul_f32_e32 v50, v176, v176                              // 00000000894C: 0A6561B0
	v_mul_f32_e32 v51, v177, v177                              // 000000008950: 0A6763B1
	v_mul_f32_e32 v52, v178, v178                              // 000000008954: 0A6965B2
	v_mul_f32_e32 v53, v179, v179                              // 000000008958: 0A6B67B3
	v_fma_f32 v50, v50, s77, v1                                // 00000000895C: D1CB0032 04049B32
	v_fma_f32 v51, v51, s77, v1                                // 000000008964: D1CB0033 04049B33
	v_fma_f32 v52, v52, s77, v1                                // 00000000896C: D1CB0034 04049B34
	v_fma_f32 v53, v53, s77, v1                                // 000000008974: D1CB0035 04049B35
	v_mul_f32_e32 v50, v50, v176                               // 00000000897C: 0A656132
	v_mul_f32_e32 v51, v51, v177                               // 000000008980: 0A676333
	v_mul_f32_e32 v52, v52, v178                               // 000000008984: 0A696534
	v_mul_f32_e32 v53, v53, v179                               // 000000008988: 0A6B6735
	v_mul_f32_e64 v50, v50, s6                                 // 00000000898C: D1050032 00000D32
	v_mul_f32_e64 v51, v51, s6                                 // 000000008994: D1050033 00000D33
	v_mul_f32_e64 v52, v52, s6                                 // 00000000899C: D1050034 00000D34
	v_mul_f32_e64 v53, v53, s6                                 // 0000000089A4: D1050035 00000D35
	v_exp_f32_e32 v50, v50                                     // 0000000089AC: 7E644132
	v_exp_f32_e32 v51, v51                                     // 0000000089B0: 7E664133
	v_exp_f32_e32 v52, v52                                     // 0000000089B4: 7E684134
	v_exp_f32_e32 v53, v53                                     // 0000000089B8: 7E6A4135
	buffer_load_dwordx4 a[100:103], v42, s[12:15], 0 offen     // 0000000089BC: E05C1000 8083642A
	v_add_f32_e64 v50, v50, 1.0                                // 0000000089C4: D1010032 0001E532
	v_add_f32_e64 v51, v51, 1.0                                // 0000000089CC: D1010033 0001E533
	v_add_f32_e64 v52, v52, 1.0                                // 0000000089D4: D1010034 0001E534
	v_add_f32_e64 v53, v53, 1.0                                // 0000000089DC: D1010035 0001E535
	v_rcp_f32_e32 v50, v50                                     // 0000000089E4: 7E644532
	v_rcp_f32_e32 v51, v51                                     // 0000000089E8: 7E664533
	v_rcp_f32_e32 v52, v52                                     // 0000000089EC: 7E684534
	v_rcp_f32_e32 v53, v53                                     // 0000000089F0: 7E6A4535
	v_mul_f32_e32 v176, v176, v50                              // 0000000089F4: 0B6065B0
	v_mul_f32_e32 v177, v177, v51                              // 0000000089F8: 0B6267B1
	v_mul_f32_e32 v178, v178, v52                              // 0000000089FC: 0B6469B2
	v_mul_f32_e32 v179, v179, v53                              // 000000008A00: 0B666BB3
	buffer_load_dwordx4 a[104:107], v43, s[12:15], 0 offen     // 000000008A04: E05C1000 8083682B
	v_mul_f32_e32 v50, v180, v180                              // 000000008A0C: 0A6569B4
	v_mul_f32_e32 v51, v181, v181                              // 000000008A10: 0A676BB5
	v_mul_f32_e32 v52, v182, v182                              // 000000008A14: 0A696DB6
	v_mul_f32_e32 v53, v183, v183                              // 000000008A18: 0A6B6FB7
	v_fma_f32 v50, v50, s77, v1                                // 000000008A1C: D1CB0032 04049B32
	v_fma_f32 v51, v51, s77, v1                                // 000000008A24: D1CB0033 04049B33
	v_fma_f32 v52, v52, s77, v1                                // 000000008A2C: D1CB0034 04049B34
	v_fma_f32 v53, v53, s77, v1                                // 000000008A34: D1CB0035 04049B35
	v_mul_f32_e32 v50, v50, v180                               // 000000008A3C: 0A656932
	v_mul_f32_e32 v51, v51, v181                               // 000000008A40: 0A676B33
	v_mul_f32_e32 v52, v52, v182                               // 000000008A44: 0A696D34
	v_mul_f32_e32 v53, v53, v183                               // 000000008A48: 0A6B6F35
	v_mul_f32_e64 v50, v50, s6                                 // 000000008A4C: D1050032 00000D32
	v_mul_f32_e64 v51, v51, s6                                 // 000000008A54: D1050033 00000D33
	v_mul_f32_e64 v52, v52, s6                                 // 000000008A5C: D1050034 00000D34
	v_mul_f32_e64 v53, v53, s6                                 // 000000008A64: D1050035 00000D35
	v_exp_f32_e32 v50, v50                                     // 000000008A6C: 7E644132
	v_exp_f32_e32 v51, v51                                     // 000000008A70: 7E664133
	v_exp_f32_e32 v52, v52                                     // 000000008A74: 7E684134
	v_exp_f32_e32 v53, v53                                     // 000000008A78: 7E6A4135
	buffer_load_dwordx4 a[108:111], v44, s[12:15], 0 offen     // 000000008A7C: E05C1000 80836C2C
	v_add_f32_e64 v50, v50, 1.0                                // 000000008A84: D1010032 0001E532
	v_add_f32_e64 v51, v51, 1.0                                // 000000008A8C: D1010033 0001E533
	v_add_f32_e64 v52, v52, 1.0                                // 000000008A94: D1010034 0001E534
	v_add_f32_e64 v53, v53, 1.0                                // 000000008A9C: D1010035 0001E535
	v_rcp_f32_e32 v50, v50                                     // 000000008AA4: 7E644532
	v_rcp_f32_e32 v51, v51                                     // 000000008AA8: 7E664533
	v_rcp_f32_e32 v52, v52                                     // 000000008AAC: 7E684534
	v_rcp_f32_e32 v53, v53                                     // 000000008AB0: 7E6A4535
	v_mul_f32_e32 v180, v180, v50                              // 000000008AB4: 0B6865B4
	v_mul_f32_e32 v181, v181, v51                              // 000000008AB8: 0B6A67B5
	v_mul_f32_e32 v182, v182, v52                              // 000000008ABC: 0B6C69B6
	v_mul_f32_e32 v183, v183, v53                              // 000000008AC0: 0B6E6BB7
	v_mul_f32_dpp v128, v18, v128 row_newbcast:0 row_mask:0xf bank_mask:0xf// 000000008AC4: 0B0100FA FF015012
	v_mul_f32_dpp v129, v18, v129 row_newbcast:1 row_mask:0xf bank_mask:0xf// 000000008ACC: 0B0302FA FF015112
	v_mul_f32_dpp v130, v18, v130 row_newbcast:2 row_mask:0xf bank_mask:0xf// 000000008AD4: 0B0504FA FF015212
	v_mul_f32_dpp v131, v18, v131 row_newbcast:3 row_mask:0xf bank_mask:0xf// 000000008ADC: 0B0706FA FF015312
	v_mul_f32_dpp v132, v18, v132 row_newbcast:0 row_mask:0xf bank_mask:0xf// 000000008AE4: 0B0908FA FF015012
	v_mul_f32_dpp v133, v18, v133 row_newbcast:1 row_mask:0xf bank_mask:0xf// 000000008AEC: 0B0B0AFA FF015112
	v_mul_f32_dpp v134, v18, v134 row_newbcast:2 row_mask:0xf bank_mask:0xf// 000000008AF4: 0B0D0CFA FF015212
	v_mul_f32_dpp v135, v18, v135 row_newbcast:3 row_mask:0xf bank_mask:0xf// 000000008AFC: 0B0F0EFA FF015312
	v_mul_f32_dpp v136, v18, v136 row_newbcast:4 row_mask:0xf bank_mask:0xf// 000000008B04: 0B1110FA FF015412
	v_mul_f32_dpp v137, v18, v137 row_newbcast:5 row_mask:0xf bank_mask:0xf// 000000008B0C: 0B1312FA FF015512
	v_mul_f32_dpp v138, v18, v138 row_newbcast:6 row_mask:0xf bank_mask:0xf// 000000008B14: 0B1514FA FF015612
	v_mul_f32_dpp v139, v18, v139 row_newbcast:7 row_mask:0xf bank_mask:0xf// 000000008B1C: 0B1716FA FF015712
	v_mul_f32_dpp v140, v18, v140 row_newbcast:4 row_mask:0xf bank_mask:0xf// 000000008B24: 0B1918FA FF015412
	v_mul_f32_dpp v141, v18, v141 row_newbcast:5 row_mask:0xf bank_mask:0xf// 000000008B2C: 0B1B1AFA FF015512
	v_mul_f32_dpp v142, v18, v142 row_newbcast:6 row_mask:0xf bank_mask:0xf// 000000008B34: 0B1D1CFA FF015612
	v_mul_f32_dpp v143, v18, v143 row_newbcast:7 row_mask:0xf bank_mask:0xf// 000000008B3C: 0B1F1EFA FF015712
	v_mul_f32_dpp v144, v18, v144 row_newbcast:8 row_mask:0xf bank_mask:0xf// 000000008B44: 0B2120FA FF015812
	v_mul_f32_dpp v145, v18, v145 row_newbcast:9 row_mask:0xf bank_mask:0xf// 000000008B4C: 0B2322FA FF015912
	v_mul_f32_dpp v146, v18, v146 row_newbcast:10 row_mask:0xf bank_mask:0xf// 000000008B54: 0B2524FA FF015A12
	v_mul_f32_dpp v147, v18, v147 row_newbcast:11 row_mask:0xf bank_mask:0xf// 000000008B5C: 0B2726FA FF015B12
	v_mul_f32_dpp v148, v18, v148 row_newbcast:8 row_mask:0xf bank_mask:0xf// 000000008B64: 0B2928FA FF015812
	v_mul_f32_dpp v149, v18, v149 row_newbcast:9 row_mask:0xf bank_mask:0xf// 000000008B6C: 0B2B2AFA FF015912
	v_mul_f32_dpp v150, v18, v150 row_newbcast:10 row_mask:0xf bank_mask:0xf// 000000008B74: 0B2D2CFA FF015A12
	v_mul_f32_dpp v151, v18, v151 row_newbcast:11 row_mask:0xf bank_mask:0xf// 000000008B7C: 0B2F2EFA FF015B12
	v_mul_f32_dpp v152, v18, v152 row_newbcast:12 row_mask:0xf bank_mask:0xf// 000000008B84: 0B3130FA FF015C12
	v_mul_f32_dpp v153, v18, v153 row_newbcast:13 row_mask:0xf bank_mask:0xf// 000000008B8C: 0B3332FA FF015D12
	v_mul_f32_dpp v154, v18, v154 row_newbcast:14 row_mask:0xf bank_mask:0xf// 000000008B94: 0B3534FA FF015E12
	v_mul_f32_dpp v155, v18, v155 row_newbcast:15 row_mask:0xf bank_mask:0xf// 000000008B9C: 0B3736FA FF015F12
	v_mul_f32_dpp v156, v18, v156 row_newbcast:12 row_mask:0xf bank_mask:0xf// 000000008BA4: 0B3938FA FF015C12
	v_mul_f32_dpp v157, v18, v157 row_newbcast:13 row_mask:0xf bank_mask:0xf// 000000008BAC: 0B3B3AFA FF015D12
	v_mul_f32_dpp v158, v18, v158 row_newbcast:14 row_mask:0xf bank_mask:0xf// 000000008BB4: 0B3D3CFA FF015E12
	v_mul_f32_dpp v159, v18, v159 row_newbcast:15 row_mask:0xf bank_mask:0xf// 000000008BBC: 0B3F3EFA FF015F12
	v_mul_f32_dpp v160, v19, v160 row_newbcast:0 row_mask:0xf bank_mask:0xf// 000000008BC4: 0B4140FA FF015013
	v_mul_f32_dpp v161, v19, v161 row_newbcast:1 row_mask:0xf bank_mask:0xf// 000000008BCC: 0B4342FA FF015113
	v_mul_f32_dpp v162, v19, v162 row_newbcast:2 row_mask:0xf bank_mask:0xf// 000000008BD4: 0B4544FA FF015213
	v_mul_f32_dpp v163, v19, v163 row_newbcast:3 row_mask:0xf bank_mask:0xf// 000000008BDC: 0B4746FA FF015313
	v_mul_f32_dpp v164, v19, v164 row_newbcast:0 row_mask:0xf bank_mask:0xf// 000000008BE4: 0B4948FA FF015013
	v_mul_f32_dpp v165, v19, v165 row_newbcast:1 row_mask:0xf bank_mask:0xf// 000000008BEC: 0B4B4AFA FF015113
	v_mul_f32_dpp v166, v19, v166 row_newbcast:2 row_mask:0xf bank_mask:0xf// 000000008BF4: 0B4D4CFA FF015213
	v_mul_f32_dpp v167, v19, v167 row_newbcast:3 row_mask:0xf bank_mask:0xf// 000000008BFC: 0B4F4EFA FF015313
	v_mul_f32_dpp v168, v19, v168 row_newbcast:4 row_mask:0xf bank_mask:0xf// 000000008C04: 0B5150FA FF015413
	v_mul_f32_dpp v169, v19, v169 row_newbcast:5 row_mask:0xf bank_mask:0xf// 000000008C0C: 0B5352FA FF015513
	v_mul_f32_dpp v170, v19, v170 row_newbcast:6 row_mask:0xf bank_mask:0xf// 000000008C14: 0B5554FA FF015613
	v_mul_f32_dpp v171, v19, v171 row_newbcast:7 row_mask:0xf bank_mask:0xf// 000000008C1C: 0B5756FA FF015713
	v_mul_f32_dpp v172, v19, v172 row_newbcast:4 row_mask:0xf bank_mask:0xf// 000000008C24: 0B5958FA FF015413
	v_mul_f32_dpp v173, v19, v173 row_newbcast:5 row_mask:0xf bank_mask:0xf// 000000008C2C: 0B5B5AFA FF015513
	v_mul_f32_dpp v174, v19, v174 row_newbcast:6 row_mask:0xf bank_mask:0xf// 000000008C34: 0B5D5CFA FF015613
	v_mul_f32_dpp v175, v19, v175 row_newbcast:7 row_mask:0xf bank_mask:0xf// 000000008C3C: 0B5F5EFA FF015713
	v_mul_f32_dpp v176, v19, v176 row_newbcast:8 row_mask:0xf bank_mask:0xf// 000000008C44: 0B6160FA FF015813
	v_mul_f32_dpp v177, v19, v177 row_newbcast:9 row_mask:0xf bank_mask:0xf// 000000008C4C: 0B6362FA FF015913
	v_mul_f32_dpp v178, v19, v178 row_newbcast:10 row_mask:0xf bank_mask:0xf// 000000008C54: 0B6564FA FF015A13
	v_mul_f32_dpp v179, v19, v179 row_newbcast:11 row_mask:0xf bank_mask:0xf// 000000008C5C: 0B6766FA FF015B13
	v_mul_f32_dpp v180, v19, v180 row_newbcast:8 row_mask:0xf bank_mask:0xf// 000000008C64: 0B6968FA FF015813
	v_mul_f32_dpp v181, v19, v181 row_newbcast:9 row_mask:0xf bank_mask:0xf// 000000008C6C: 0B6B6AFA FF015913
	v_mul_f32_dpp v182, v19, v182 row_newbcast:10 row_mask:0xf bank_mask:0xf// 000000008C74: 0B6D6CFA FF015A13
	v_mul_f32_dpp v183, v19, v183 row_newbcast:11 row_mask:0xf bank_mask:0xf// 000000008C7C: 0B6F6EFA FF015B13
	buffer_load_dword v12, v5, s[16:19], 0 offen               // 000000008C84: E0501000 80040C05
	v_mov_b32_e32 v22, 0x358637bd                              // 000000008C8C: 7E2C02FF 358637BD
	v_mov_b32_e32 v23, 0x358637bd                              // 000000008C94: 7E2E02FF 358637BD
	v_max3_f32 v22, |v128|, |v129|, v22                        // 000000008C9C: D1D30316 045B0380
	v_max3_f32 v22, |v130|, |v131|, v22                        // 000000008CA4: D1D30316 045B0782
	v_max3_f32 v23, |v132|, |v133|, v23                        // 000000008CAC: D1D30317 045F0B84
	v_max3_f32 v23, |v134|, |v135|, v23                        // 000000008CB4: D1D30317 045F0F86
	v_max3_f32 v22, |v136|, |v137|, v22                        // 000000008CBC: D1D30316 045B1388
	v_max3_f32 v22, |v138|, |v139|, v22                        // 000000008CC4: D1D30316 045B178A
	v_max3_f32 v23, |v140|, |v141|, v23                        // 000000008CCC: D1D30317 045F1B8C
	v_max3_f32 v23, |v142|, |v143|, v23                        // 000000008CD4: D1D30317 045F1F8E
	v_max3_f32 v22, |v144|, |v145|, v22                        // 000000008CDC: D1D30316 045B2390
	v_max3_f32 v22, |v146|, |v147|, v22                        // 000000008CE4: D1D30316 045B2792
	v_max3_f32 v23, |v148|, |v149|, v23                        // 000000008CEC: D1D30317 045F2B94
	v_max3_f32 v23, |v150|, |v151|, v23                        // 000000008CF4: D1D30317 045F2F96
	v_max3_f32 v22, |v152|, |v153|, v22                        // 000000008CFC: D1D30316 045B3398
	v_max3_f32 v22, |v154|, |v155|, v22                        // 000000008D04: D1D30316 045B379A
	v_max3_f32 v23, |v156|, |v157|, v23                        // 000000008D0C: D1D30317 045F3B9C
	v_max3_f32 v23, |v158|, |v159|, v23                        // 000000008D14: D1D30317 045F3F9E
	v_max3_f32 v22, |v160|, |v161|, v22                        // 000000008D1C: D1D30316 045B43A0
	v_max3_f32 v22, |v162|, |v163|, v22                        // 000000008D24: D1D30316 045B47A2
	v_max3_f32 v23, |v164|, |v165|, v23                        // 000000008D2C: D1D30317 045F4BA4
	v_max3_f32 v23, |v166|, |v167|, v23                        // 000000008D34: D1D30317 045F4FA6
	v_max3_f32 v22, |v168|, |v169|, v22                        // 000000008D3C: D1D30316 045B53A8
	v_max3_f32 v22, |v170|, |v171|, v22                        // 000000008D44: D1D30316 045B57AA
	v_max3_f32 v23, |v172|, |v173|, v23                        // 000000008D4C: D1D30317 045F5BAC
	v_max3_f32 v23, |v174|, |v175|, v23                        // 000000008D54: D1D30317 045F5FAE
	v_max3_f32 v22, |v176|, |v177|, v22                        // 000000008D5C: D1D30316 045B63B0
	v_max3_f32 v22, |v178|, |v179|, v22                        // 000000008D64: D1D30316 045B67B2
	v_max3_f32 v23, |v180|, |v181|, v23                        // 000000008D6C: D1D30317 045F6BB4
	v_max3_f32 v23, |v182|, |v183|, v23                        // 000000008D74: D1D30317 045F6FB6
	v_lshlrev_b32_e32 v50, 3, v0                               // 000000008D7C: 24640083
	s_mul_i32 s60, 0x200, s7                                   // 000000008D80: 923C07FF 00000200
	v_add_u32_e32 v50, s60, v50                                // 000000008D88: 6864643C
	ds_write_b64 v50, v[22:23] offset:16640                    // 000000008D8C: D89A4100 00001632
	s_waitcnt lgkmcnt(0)                                       // 000000008D94: BF8CC07F
	s_barrier                                                  // 000000008D98: BF8A0000
	v_and_b32_e32 v50, 15, v0                                  // 000000008D9C: 2664008F
	v_lshlrev_b32_e32 v50, 3, v50                              // 000000008DA0: 24646483
	ds_read_b64 v[96:97], v50 offset:16640                     // 000000008DA4: D8EC4100 60000032
	ds_read_b64 v[98:99], v50 offset:16768                     // 000000008DAC: D8EC4180 62000032
	ds_read_b64 v[100:101], v50 offset:16896                   // 000000008DB4: D8EC4200 64000032
	ds_read_b64 v[102:103], v50 offset:17024                   // 000000008DBC: D8EC4280 66000032
	ds_read_b64 v[104:105], v50 offset:17152                   // 000000008DC4: D8EC4300 68000032
	ds_read_b64 v[106:107], v50 offset:17280                   // 000000008DCC: D8EC4380 6A000032
	ds_read_b64 v[108:109], v50 offset:17408                   // 000000008DD4: D8EC4400 6C000032
	ds_read_b64 v[110:111], v50 offset:17536                   // 000000008DDC: D8EC4480 6E000032
	ds_read_b64 v[112:113], v50 offset:17664                   // 000000008DE4: D8EC4500 70000032
	ds_read_b64 v[114:115], v50 offset:17792                   // 000000008DEC: D8EC4580 72000032
	ds_read_b64 v[116:117], v50 offset:17920                   // 000000008DF4: D8EC4600 74000032
	ds_read_b64 v[118:119], v50 offset:18048                   // 000000008DFC: D8EC4680 76000032
	ds_read_b64 v[120:121], v50 offset:18176                   // 000000008E04: D8EC4700 78000032
	ds_read_b64 v[122:123], v50 offset:18304                   // 000000008E0C: D8EC4780 7A000032
	ds_read_b64 v[124:125], v50 offset:18432                   // 000000008E14: D8EC4800 7C000032
	ds_read_b64 v[126:127], v50 offset:18560                   // 000000008E1C: D8EC4880 7E000032
	s_waitcnt lgkmcnt(0)                                       // 000000008E24: BF8CC07F
	v_max3_f32 v22, |v96|, |v98|, v22                          // 000000008E28: D1D30316 045AC560
	v_max3_f32 v23, |v97|, |v99|, v23                          // 000000008E30: D1D30317 045EC761
	v_max3_f32 v22, |v100|, |v102|, v22                        // 000000008E38: D1D30316 045ACD64
	v_max3_f32 v23, |v101|, |v103|, v23                        // 000000008E40: D1D30317 045ECF65
	v_max3_f32 v22, |v104|, |v106|, v22                        // 000000008E48: D1D30316 045AD568
	v_max3_f32 v23, |v105|, |v107|, v23                        // 000000008E50: D1D30317 045ED769
	v_max3_f32 v22, |v108|, |v110|, v22                        // 000000008E58: D1D30316 045ADD6C
	v_max3_f32 v23, |v109|, |v111|, v23                        // 000000008E60: D1D30317 045EDF6D
	v_max3_f32 v22, |v112|, |v114|, v22                        // 000000008E68: D1D30316 045AE570
	v_max3_f32 v23, |v113|, |v115|, v23                        // 000000008E70: D1D30317 045EE771
	v_max3_f32 v22, |v116|, |v118|, v22                        // 000000008E78: D1D30316 045AED74
	v_max3_f32 v23, |v117|, |v119|, v23                        // 000000008E80: D1D30317 045EEF75
	v_max3_f32 v22, |v120|, |v122|, v22                        // 000000008E88: D1D30316 045AF578
	v_max3_f32 v23, |v121|, |v123|, v23                        // 000000008E90: D1D30317 045EF779
	v_max3_f32 v22, |v124|, |v126|, v22                        // 000000008E98: D1D30316 045AFD7C
	v_max3_f32 v23, |v125|, |v127|, v23                        // 000000008EA0: D1D30317 045EFF7D
	v_rcp_f32_e32 v22, v22                                     // 000000008EA8: 7E2C4516
	v_rcp_f32_e32 v23, v23                                     // 000000008EAC: 7E2E4517
	v_mul_f32_e32 v22, 0x42fe0000, v22                         // 000000008EB0: 0A2C2CFF 42FE0000
	v_mul_f32_e32 v23, 0x42fe0000, v23                         // 000000008EB8: 0A2E2EFF 42FE0000
	v_mul_f32_e32 v128, v22, v128                              // 000000008EC0: 0B010116
	v_mul_f32_e32 v129, v22, v129                              // 000000008EC4: 0B030316
	v_mul_f32_e32 v130, v22, v130                              // 000000008EC8: 0B050516
	v_mul_f32_e32 v131, v22, v131                              // 000000008ECC: 0B070716
	v_cvt_i32_f32_e32 v128, v128                               // 000000008ED0: 7F001180
	v_cvt_i32_f32_e32 v129, v129                               // 000000008ED4: 7F021181
	v_cvt_i32_f32_e32 v130, v130                               // 000000008ED8: 7F041182
	v_cvt_i32_f32_e32 v131, v131                               // 000000008EDC: 7F061183
	v_perm_b32 v128, v129, v128, s53                           // 000000008EE0: D1ED0080 00D70181
	v_perm_b32 v128, v130, v128, s54                           // 000000008EE8: D1ED0080 00DB0182
	v_perm_b32 v128, v131, v128, s55                           // 000000008EF0: D1ED0080 00DF0183
	v_mul_f32_e32 v132, v23, v132                              // 000000008EF8: 0B090917
	v_mul_f32_e32 v133, v23, v133                              // 000000008EFC: 0B0B0B17
	v_mul_f32_e32 v134, v23, v134                              // 000000008F00: 0B0D0D17
	v_mul_f32_e32 v135, v23, v135                              // 000000008F04: 0B0F0F17
	v_cvt_i32_f32_e32 v132, v132                               // 000000008F08: 7F081184
	v_cvt_i32_f32_e32 v133, v133                               // 000000008F0C: 7F0A1185
	v_cvt_i32_f32_e32 v134, v134                               // 000000008F10: 7F0C1186
	v_cvt_i32_f32_e32 v135, v135                               // 000000008F14: 7F0E1187
	v_perm_b32 v129, v133, v132, s53                           // 000000008F18: D1ED0081 00D70985
	v_perm_b32 v129, v134, v129, s54                           // 000000008F20: D1ED0081 00DB0386
	v_perm_b32 v129, v135, v129, s55                           // 000000008F28: D1ED0081 00DF0387
	v_mul_f32_e32 v136, v22, v136                              // 000000008F30: 0B111116
	v_mul_f32_e32 v137, v22, v137                              // 000000008F34: 0B131316
	v_mul_f32_e32 v138, v22, v138                              // 000000008F38: 0B151516
	v_mul_f32_e32 v139, v22, v139                              // 000000008F3C: 0B171716
	v_cvt_i32_f32_e32 v136, v136                               // 000000008F40: 7F101188
	v_cvt_i32_f32_e32 v137, v137                               // 000000008F44: 7F121189
	v_cvt_i32_f32_e32 v138, v138                               // 000000008F48: 7F14118A
	v_cvt_i32_f32_e32 v139, v139                               // 000000008F4C: 7F16118B
	v_perm_b32 v130, v137, v136, s53                           // 000000008F50: D1ED0082 00D71189
	v_perm_b32 v130, v138, v130, s54                           // 000000008F58: D1ED0082 00DB058A
	v_perm_b32 v130, v139, v130, s55                           // 000000008F60: D1ED0082 00DF058B
	v_mul_f32_e32 v140, v23, v140                              // 000000008F68: 0B191917
	v_mul_f32_e32 v141, v23, v141                              // 000000008F6C: 0B1B1B17
	v_mul_f32_e32 v142, v23, v142                              // 000000008F70: 0B1D1D17
	v_mul_f32_e32 v143, v23, v143                              // 000000008F74: 0B1F1F17
	v_cvt_i32_f32_e32 v140, v140                               // 000000008F78: 7F18118C
	v_cvt_i32_f32_e32 v141, v141                               // 000000008F7C: 7F1A118D
	v_cvt_i32_f32_e32 v142, v142                               // 000000008F80: 7F1C118E
	v_cvt_i32_f32_e32 v143, v143                               // 000000008F84: 7F1E118F
	v_perm_b32 v131, v141, v140, s53                           // 000000008F88: D1ED0083 00D7198D
	v_perm_b32 v131, v142, v131, s54                           // 000000008F90: D1ED0083 00DB078E
	v_perm_b32 v131, v143, v131, s55                           // 000000008F98: D1ED0083 00DF078F
	v_mul_f32_e32 v144, v22, v144                              // 000000008FA0: 0B212116
	v_mul_f32_e32 v145, v22, v145                              // 000000008FA4: 0B232316
	v_mul_f32_e32 v146, v22, v146                              // 000000008FA8: 0B252516
	v_mul_f32_e32 v147, v22, v147                              // 000000008FAC: 0B272716
	v_cvt_i32_f32_e32 v144, v144                               // 000000008FB0: 7F201190
	v_cvt_i32_f32_e32 v145, v145                               // 000000008FB4: 7F221191
	v_cvt_i32_f32_e32 v146, v146                               // 000000008FB8: 7F241192
	v_cvt_i32_f32_e32 v147, v147                               // 000000008FBC: 7F261193
	v_perm_b32 v132, v145, v144, s53                           // 000000008FC0: D1ED0084 00D72191
	v_perm_b32 v132, v146, v132, s54                           // 000000008FC8: D1ED0084 00DB0992
	v_perm_b32 v132, v147, v132, s55                           // 000000008FD0: D1ED0084 00DF0993
	v_mul_f32_e32 v148, v23, v148                              // 000000008FD8: 0B292917
	v_mul_f32_e32 v149, v23, v149                              // 000000008FDC: 0B2B2B17
	v_mul_f32_e32 v150, v23, v150                              // 000000008FE0: 0B2D2D17
	v_mul_f32_e32 v151, v23, v151                              // 000000008FE4: 0B2F2F17
	v_cvt_i32_f32_e32 v148, v148                               // 000000008FE8: 7F281194
	v_cvt_i32_f32_e32 v149, v149                               // 000000008FEC: 7F2A1195
	v_cvt_i32_f32_e32 v150, v150                               // 000000008FF0: 7F2C1196
	v_cvt_i32_f32_e32 v151, v151                               // 000000008FF4: 7F2E1197
	v_perm_b32 v133, v149, v148, s53                           // 000000008FF8: D1ED0085 00D72995
	v_perm_b32 v133, v150, v133, s54                           // 000000009000: D1ED0085 00DB0B96
	v_perm_b32 v133, v151, v133, s55                           // 000000009008: D1ED0085 00DF0B97
	v_mul_f32_e32 v152, v22, v152                              // 000000009010: 0B313116
	v_mul_f32_e32 v153, v22, v153                              // 000000009014: 0B333316
	v_mul_f32_e32 v154, v22, v154                              // 000000009018: 0B353516
	v_mul_f32_e32 v155, v22, v155                              // 00000000901C: 0B373716
	v_cvt_i32_f32_e32 v152, v152                               // 000000009020: 7F301198
	v_cvt_i32_f32_e32 v153, v153                               // 000000009024: 7F321199
	v_cvt_i32_f32_e32 v154, v154                               // 000000009028: 7F34119A
	v_cvt_i32_f32_e32 v155, v155                               // 00000000902C: 7F36119B
	v_perm_b32 v134, v153, v152, s53                           // 000000009030: D1ED0086 00D73199
	v_perm_b32 v134, v154, v134, s54                           // 000000009038: D1ED0086 00DB0D9A
	v_perm_b32 v134, v155, v134, s55                           // 000000009040: D1ED0086 00DF0D9B
	v_mul_f32_e32 v156, v23, v156                              // 000000009048: 0B393917
	v_mul_f32_e32 v157, v23, v157                              // 00000000904C: 0B3B3B17
	v_mul_f32_e32 v158, v23, v158                              // 000000009050: 0B3D3D17
	v_mul_f32_e32 v159, v23, v159                              // 000000009054: 0B3F3F17
	v_cvt_i32_f32_e32 v156, v156                               // 000000009058: 7F38119C
	v_cvt_i32_f32_e32 v157, v157                               // 00000000905C: 7F3A119D
	v_cvt_i32_f32_e32 v158, v158                               // 000000009060: 7F3C119E
	v_cvt_i32_f32_e32 v159, v159                               // 000000009064: 7F3E119F
	v_perm_b32 v135, v157, v156, s53                           // 000000009068: D1ED0087 00D7399D
	v_perm_b32 v135, v158, v135, s54                           // 000000009070: D1ED0087 00DB0F9E
	v_perm_b32 v135, v159, v135, s55                           // 000000009078: D1ED0087 00DF0F9F
	v_mul_f32_e32 v160, v22, v160                              // 000000009080: 0B414116
	v_mul_f32_e32 v161, v22, v161                              // 000000009084: 0B434316
	v_mul_f32_e32 v162, v22, v162                              // 000000009088: 0B454516
	v_mul_f32_e32 v163, v22, v163                              // 00000000908C: 0B474716
	v_cvt_i32_f32_e32 v160, v160                               // 000000009090: 7F4011A0
	v_cvt_i32_f32_e32 v161, v161                               // 000000009094: 7F4211A1
	v_cvt_i32_f32_e32 v162, v162                               // 000000009098: 7F4411A2
	v_cvt_i32_f32_e32 v163, v163                               // 00000000909C: 7F4611A3
	v_perm_b32 v136, v161, v160, s53                           // 0000000090A0: D1ED0088 00D741A1
	v_perm_b32 v136, v162, v136, s54                           // 0000000090A8: D1ED0088 00DB11A2
	v_perm_b32 v136, v163, v136, s55                           // 0000000090B0: D1ED0088 00DF11A3
	v_mul_f32_e32 v164, v23, v164                              // 0000000090B8: 0B494917
	v_mul_f32_e32 v165, v23, v165                              // 0000000090BC: 0B4B4B17
	v_mul_f32_e32 v166, v23, v166                              // 0000000090C0: 0B4D4D17
	v_mul_f32_e32 v167, v23, v167                              // 0000000090C4: 0B4F4F17
	v_cvt_i32_f32_e32 v164, v164                               // 0000000090C8: 7F4811A4
	v_cvt_i32_f32_e32 v165, v165                               // 0000000090CC: 7F4A11A5
	v_cvt_i32_f32_e32 v166, v166                               // 0000000090D0: 7F4C11A6
	v_cvt_i32_f32_e32 v167, v167                               // 0000000090D4: 7F4E11A7
	v_perm_b32 v137, v165, v164, s53                           // 0000000090D8: D1ED0089 00D749A5
	v_perm_b32 v137, v166, v137, s54                           // 0000000090E0: D1ED0089 00DB13A6
	v_perm_b32 v137, v167, v137, s55                           // 0000000090E8: D1ED0089 00DF13A7
	v_mul_f32_e32 v168, v22, v168                              // 0000000090F0: 0B515116
	v_mul_f32_e32 v169, v22, v169                              // 0000000090F4: 0B535316
	v_mul_f32_e32 v170, v22, v170                              // 0000000090F8: 0B555516
	v_mul_f32_e32 v171, v22, v171                              // 0000000090FC: 0B575716
	v_cvt_i32_f32_e32 v168, v168                               // 000000009100: 7F5011A8
	v_cvt_i32_f32_e32 v169, v169                               // 000000009104: 7F5211A9
	v_cvt_i32_f32_e32 v170, v170                               // 000000009108: 7F5411AA
	v_cvt_i32_f32_e32 v171, v171                               // 00000000910C: 7F5611AB
	v_perm_b32 v138, v169, v168, s53                           // 000000009110: D1ED008A 00D751A9
	v_perm_b32 v138, v170, v138, s54                           // 000000009118: D1ED008A 00DB15AA
	v_perm_b32 v138, v171, v138, s55                           // 000000009120: D1ED008A 00DF15AB
	v_mul_f32_e32 v172, v23, v172                              // 000000009128: 0B595917
	v_mul_f32_e32 v173, v23, v173                              // 00000000912C: 0B5B5B17
	v_mul_f32_e32 v174, v23, v174                              // 000000009130: 0B5D5D17
	v_mul_f32_e32 v175, v23, v175                              // 000000009134: 0B5F5F17
	v_cvt_i32_f32_e32 v172, v172                               // 000000009138: 7F5811AC
	v_cvt_i32_f32_e32 v173, v173                               // 00000000913C: 7F5A11AD
	v_cvt_i32_f32_e32 v174, v174                               // 000000009140: 7F5C11AE
	v_cvt_i32_f32_e32 v175, v175                               // 000000009144: 7F5E11AF
	v_perm_b32 v139, v173, v172, s53                           // 000000009148: D1ED008B 00D759AD
	v_perm_b32 v139, v174, v139, s54                           // 000000009150: D1ED008B 00DB17AE
	v_perm_b32 v139, v175, v139, s55                           // 000000009158: D1ED008B 00DF17AF
	v_mul_f32_e32 v176, v22, v176                              // 000000009160: 0B616116
	v_mul_f32_e32 v177, v22, v177                              // 000000009164: 0B636316
	v_mul_f32_e32 v178, v22, v178                              // 000000009168: 0B656516
	v_mul_f32_e32 v179, v22, v179                              // 00000000916C: 0B676716
	v_cvt_i32_f32_e32 v176, v176                               // 000000009170: 7F6011B0
	v_cvt_i32_f32_e32 v177, v177                               // 000000009174: 7F6211B1
	v_cvt_i32_f32_e32 v178, v178                               // 000000009178: 7F6411B2
	v_cvt_i32_f32_e32 v179, v179                               // 00000000917C: 7F6611B3
	v_perm_b32 v140, v177, v176, s53                           // 000000009180: D1ED008C 00D761B1
	v_perm_b32 v140, v178, v140, s54                           // 000000009188: D1ED008C 00DB19B2
	v_perm_b32 v140, v179, v140, s55                           // 000000009190: D1ED008C 00DF19B3
	v_mul_f32_e32 v180, v23, v180                              // 000000009198: 0B696917
	v_mul_f32_e32 v181, v23, v181                              // 00000000919C: 0B6B6B17
	v_mul_f32_e32 v182, v23, v182                              // 0000000091A0: 0B6D6D17
	v_mul_f32_e32 v183, v23, v183                              // 0000000091A4: 0B6F6F17
	v_cvt_i32_f32_e32 v180, v180                               // 0000000091A8: 7F6811B4
	v_cvt_i32_f32_e32 v181, v181                               // 0000000091AC: 7F6A11B5
	v_cvt_i32_f32_e32 v182, v182                               // 0000000091B0: 7F6C11B6
	v_cvt_i32_f32_e32 v183, v183                               // 0000000091B4: 7F6E11B7
	v_perm_b32 v141, v181, v180, s53                           // 0000000091B8: D1ED008D 00D769B5
	v_perm_b32 v141, v182, v141, s54                           // 0000000091C0: D1ED008D 00DB1BB6
	v_perm_b32 v141, v183, v141, s55                           // 0000000091C8: D1ED008D 00DF1BB7
	v_rcp_f32_e32 v24, v22                                     // 0000000091D0: 7E304516
	v_rcp_f32_e32 v25, v23                                     // 0000000091D4: 7E324517
	v_lshrrev_b32_e32 v50, 5, v0                               // 0000000091D8: 20640085
	v_lshlrev_b32_e32 v51, 5, v50                              // 0000000091DC: 24666485
	v_and_b32_e32 v50, 31, v0                                  // 0000000091E0: 2664009F
	v_lshrrev_b32_e32 v52, 4, v50                              // 0000000091E4: 20686484
	v_add_u32_e32 v51, v52, v51                                // 0000000091E8: 68666734
	v_and_b32_e32 v50, 15, v0                                  // 0000000091EC: 2664008F
	v_lshlrev_b32_e32 v50, 1, v50                              // 0000000091F0: 24646481
	v_add_u32_e32 v51, v50, v51                                // 0000000091F4: 68666732
	v_lshlrev_b32_e32 v50, 2, v51                              // 0000000091F8: 24646682
	s_mul_i32 s60, 0x100, s7                                   // 0000000091FC: 923C07FF 00000100
	v_add_u32_e64 v50, v50, s60                                // 000000009204: D1340032 00007932
	ds_write_b32 v50, v128 offset:18688                        // 00000000920C: D81A4900 00008032
	ds_write_b32 v50, v129 offset:25856                        // 000000009214: D81A6500 00008132
	ds_write_b32 v50, v130 offset:19712                        // 00000000921C: D81A4D00 00008232
	ds_write_b32 v50, v131 offset:26880                        // 000000009224: D81A6900 00008332
	ds_write_b32 v50, v132 offset:20736                        // 00000000922C: D81A5100 00008432
	ds_write_b32 v50, v133 offset:27904                        // 000000009234: D81A6D00 00008532
	ds_write_b32 v50, v134 offset:21760                        // 00000000923C: D81A5500 00008632
	ds_write_b32 v50, v135 offset:28928                        // 000000009244: D81A7100 00008732
	ds_write_b32 v50, v136 offset:22784                        // 00000000924C: D81A5900 00008832
	ds_write_b32 v50, v137 offset:29952                        // 000000009254: D81A7500 00008932
	ds_write_b32 v50, v138 offset:23808                        // 00000000925C: D81A5D00 00008A32
	ds_write_b32 v50, v139 offset:30976                        // 000000009264: D81A7900 00008B32
	ds_write_b32 v50, v140 offset:24832                        // 00000000926C: D81A6100 00008C32
	ds_write_b32 v50, v141 offset:32000                        // 000000009274: D81A7D00 00008D32
	s_waitcnt lgkmcnt(0)                                       // 00000000927C: BF8CC07F
	s_barrier                                                  // 000000009280: BF8A0000
	v_lshrrev_b32_e32 v50, 4, v0                               // 000000009284: 20640084
	v_lshlrev_b32_e32 v51, 6, v50                              // 000000009288: 24666486
	v_and_b32_e32 v50, 15, v0                                  // 00000000928C: 2664008F
	v_lshlrev_b32_e32 v50, 1, v50                              // 000000009290: 24646481
	v_add_u32_e32 v51, v50, v51                                // 000000009294: 68666732
	v_lshlrev_b32_e32 v50, 2, v51                              // 000000009298: 24646682
	ds_read_b64 v[128:129], v50 offset:18688                   // 00000000929C: D8EC4900 80000032
	ds_read_b64 v[130:131], v50 offset:18816                   // 0000000092A4: D8EC4980 82000032
	ds_read_b64 v[132:133], v50 offset:19712                   // 0000000092AC: D8EC4D00 84000032
	ds_read_b64 v[134:135], v50 offset:19840                   // 0000000092B4: D8EC4D80 86000032
	ds_read_b64 v[136:137], v50 offset:20736                   // 0000000092BC: D8EC5100 88000032
	ds_read_b64 v[138:139], v50 offset:20864                   // 0000000092C4: D8EC5180 8A000032
	ds_read_b64 v[140:141], v50 offset:21760                   // 0000000092CC: D8EC5500 8C000032
	ds_read_b64 v[142:143], v50 offset:21888                   // 0000000092D4: D8EC5580 8E000032
	ds_read_b64 v[144:145], v50 offset:22784                   // 0000000092DC: D8EC5900 90000032
	ds_read_b64 v[146:147], v50 offset:22912                   // 0000000092E4: D8EC5980 92000032
	ds_read_b64 v[148:149], v50 offset:23808                   // 0000000092EC: D8EC5D00 94000032
	ds_read_b64 v[150:151], v50 offset:23936                   // 0000000092F4: D8EC5D80 96000032
	ds_read_b64 v[152:153], v50 offset:24832                   // 0000000092FC: D8EC6100 98000032
	ds_read_b64 v[154:155], v50 offset:24960                   // 000000009304: D8EC6180 9A000032
	ds_read_b64 v[156:157], v50 offset:25856                   // 00000000930C: D8EC6500 9C000032
	ds_read_b64 v[158:159], v50 offset:25984                   // 000000009314: D8EC6580 9E000032
	ds_read_b64 v[160:161], v50 offset:26880                   // 00000000931C: D8EC6900 A0000032
	ds_read_b64 v[162:163], v50 offset:27008                   // 000000009324: D8EC6980 A2000032
	ds_read_b64 v[164:165], v50 offset:27904                   // 00000000932C: D8EC6D00 A4000032
	ds_read_b64 v[166:167], v50 offset:28032                   // 000000009334: D8EC6D80 A6000032
	ds_read_b64 v[168:169], v50 offset:28928                   // 00000000933C: D8EC7100 A8000032
	ds_read_b64 v[170:171], v50 offset:29056                   // 000000009344: D8EC7180 AA000032
	ds_read_b64 v[172:173], v50 offset:29952                   // 00000000934C: D8EC7500 AC000032
	ds_read_b64 v[174:175], v50 offset:30080                   // 000000009354: D8EC7580 AE000032
	ds_read_b64 v[176:177], v50 offset:30976                   // 00000000935C: D8EC7900 B0000032
	ds_read_b64 v[178:179], v50 offset:31104                   // 000000009364: D8EC7980 B2000032
	ds_read_b64 v[180:181], v50 offset:32000                   // 00000000936C: D8EC7D00 B4000032
	ds_read_b64 v[182:183], v50 offset:32128                   // 000000009374: D8EC7D80 B6000032
	s_add_u32 s12, s56, s12                                    // 00000000937C: 800C0C38
	s_addc_u32 s13, 0, s13                                     // 000000009380: 820D0D80
	s_add_u32 s16, s79, s16                                    // 000000009384: 8010104F
	s_addc_u32 s17, 0, s17                                     // 000000009388: 82111180
	s_mov_b32 s80, 0                                           // 00000000938C: BED00080
	s_waitcnt vmcnt(0) expcnt(0) lgkmcnt(0)                    // 000000009390: BF8C0000

0000000000009394 <label_1A25>:
	s_waitcnt vmcnt(41)                                        // 000000009394: BF8C8F79
	s_barrier                                                  // 000000009398: BF8A0000
	v_mfma_i32_16x16x32_i8 v[184:187], a[0:1], v[128:129], 0   // 00000000939C: D3D700B8 0A030100
	buffer_load_dwordx4 a[112:115], v41, s[12:15], 0 offen     // 0000000093A4: E05C1000 80837029
	v_mfma_i32_16x16x32_i8 v[184:187], a[2:3], v[130:131], v[184:187]// 0000000093AC: D3D700B8 0EE30502
	v_mfma_i32_16x16x32_i8 v[188:191], a[0:1], v[156:157], 0   // 0000000093B4: D3D700BC 0A033900
	v_mfma_i32_16x16x32_i8 v[188:191], a[2:3], v[158:159], v[188:191]// 0000000093BC: D3D700BC 0EF33D02
	v_mfma_i32_16x16x32_i8 v[192:195], a[4:5], v[128:129], 0   // 0000000093C4: D3D700C0 0A030104
	buffer_load_dwordx4 a[116:119], v42, s[12:15], 0 offen     // 0000000093CC: E05C1000 8083742A
	v_mfma_i32_16x16x32_i8 v[192:195], a[6:7], v[130:131], v[192:195]// 0000000093D4: D3D700C0 0F030506
	v_mfma_i32_16x16x32_i8 v[196:199], a[4:5], v[156:157], 0   // 0000000093DC: D3D700C4 0A033904
	v_mfma_i32_16x16x32_i8 v[196:199], a[6:7], v[158:159], v[196:199]// 0000000093E4: D3D700C4 0F133D06
	v_mfma_i32_16x16x32_i8 v[200:203], a[8:9], v[128:129], 0   // 0000000093EC: D3D700C8 0A030108
	buffer_load_dwordx4 a[120:123], v43, s[12:15], 0 offen     // 0000000093F4: E05C1000 8083782B
	v_mfma_i32_16x16x32_i8 v[200:203], a[10:11], v[130:131], v[200:203]// 0000000093FC: D3D700C8 0F23050A
	v_mfma_i32_16x16x32_i8 v[204:207], a[8:9], v[156:157], 0   // 000000009404: D3D700CC 0A033908
	v_mfma_i32_16x16x32_i8 v[204:207], a[10:11], v[158:159], v[204:207]// 00000000940C: D3D700CC 0F333D0A
	v_mfma_i32_16x16x32_i8 v[208:211], a[12:13], v[128:129], 0 // 000000009414: D3D700D0 0A03010C
	buffer_load_dwordx4 a[124:127], v44, s[12:15], 0 offen     // 00000000941C: E05C1000 80837C2C
	s_add_u32 s12, s78, s12                                    // 000000009424: 800C0C4E
	s_addc_u32 s13, 0, s13                                     // 000000009428: 820D0D80
	v_mfma_i32_16x16x32_i8 v[208:211], a[14:15], v[130:131], v[208:211]// 00000000942C: D3D700D0 0F43050E
	v_mfma_i32_16x16x32_i8 v[212:215], a[12:13], v[156:157], 0 // 000000009434: D3D700D4 0A03390C
	v_mfma_i32_16x16x32_i8 v[212:215], a[14:15], v[158:159], v[212:215]// 00000000943C: D3D700D4 0F533D0E
	s_waitcnt vmcnt(41)                                        // 000000009444: BF8C8F79
	v_mfma_i32_16x16x32_i8 v[184:187], a[16:17], v[132:133], v[184:187]// 000000009448: D3D700B8 0EE30910
	buffer_load_dwordx4 a[128:131], v41, s[12:15], 0 offen     // 000000009450: E05C1000 80838029
	v_mfma_i32_16x16x32_i8 v[184:187], a[18:19], v[134:135], v[184:187]// 000000009458: D3D700B8 0EE30D12
	v_mfma_i32_16x16x32_i8 v[188:191], a[16:17], v[160:161], v[188:191]// 000000009460: D3D700BC 0EF34110
	v_mfma_i32_16x16x32_i8 v[188:191], a[18:19], v[162:163], v[188:191]// 000000009468: D3D700BC 0EF34512
	v_mfma_i32_16x16x32_i8 v[192:195], a[20:21], v[132:133], v[192:195]// 000000009470: D3D700C0 0F030914
	buffer_load_dwordx4 a[132:135], v42, s[12:15], 0 offen     // 000000009478: E05C1000 8083842A
	v_mfma_i32_16x16x32_i8 v[192:195], a[22:23], v[134:135], v[192:195]// 000000009480: D3D700C0 0F030D16
	v_mfma_i32_16x16x32_i8 v[196:199], a[20:21], v[160:161], v[196:199]// 000000009488: D3D700C4 0F134114
	v_mfma_i32_16x16x32_i8 v[196:199], a[22:23], v[162:163], v[196:199]// 000000009490: D3D700C4 0F134516
	v_mfma_i32_16x16x32_i8 v[200:203], a[24:25], v[132:133], v[200:203]// 000000009498: D3D700C8 0F230918
	buffer_load_dwordx4 a[136:139], v43, s[12:15], 0 offen     // 0000000094A0: E05C1000 8083882B
	v_mfma_i32_16x16x32_i8 v[200:203], a[26:27], v[134:135], v[200:203]// 0000000094A8: D3D700C8 0F230D1A
	v_mfma_i32_16x16x32_i8 v[204:207], a[24:25], v[160:161], v[204:207]// 0000000094B0: D3D700CC 0F334118
	v_mfma_i32_16x16x32_i8 v[204:207], a[26:27], v[162:163], v[204:207]// 0000000094B8: D3D700CC 0F33451A
	v_mfma_i32_16x16x32_i8 v[208:211], a[28:29], v[132:133], v[208:211]// 0000000094C0: D3D700D0 0F43091C
	buffer_load_dwordx4 a[140:143], v44, s[12:15], 0 offen     // 0000000094C8: E05C1000 80838C2C
	s_add_u32 s12, s78, s12                                    // 0000000094D0: 800C0C4E
	s_addc_u32 s13, 0, s13                                     // 0000000094D4: 820D0D80
	v_mfma_i32_16x16x32_i8 v[208:211], a[30:31], v[134:135], v[208:211]// 0000000094D8: D3D700D0 0F430D1E
	v_mfma_i32_16x16x32_i8 v[212:215], a[28:29], v[160:161], v[212:215]// 0000000094E0: D3D700D4 0F53411C
	v_mfma_i32_16x16x32_i8 v[212:215], a[30:31], v[162:163], v[212:215]// 0000000094E8: D3D700D4 0F53451E
	s_waitcnt vmcnt(41)                                        // 0000000094F0: BF8C8F79
	v_mfma_i32_16x16x32_i8 v[184:187], a[32:33], v[136:137], v[184:187]// 0000000094F4: D3D700B8 0EE31120
	buffer_load_dwordx4 a[144:147], v41, s[12:15], 0 offen     // 0000000094FC: E05C1000 80839029
	v_mfma_i32_16x16x32_i8 v[184:187], a[34:35], v[138:139], v[184:187]// 000000009504: D3D700B8 0EE31522
	v_mfma_i32_16x16x32_i8 v[188:191], a[32:33], v[164:165], v[188:191]// 00000000950C: D3D700BC 0EF34920
	v_mfma_i32_16x16x32_i8 v[188:191], a[34:35], v[166:167], v[188:191]// 000000009514: D3D700BC 0EF34D22
	v_mfma_i32_16x16x32_i8 v[192:195], a[36:37], v[136:137], v[192:195]// 00000000951C: D3D700C0 0F031124
	buffer_load_dwordx4 a[148:151], v42, s[12:15], 0 offen     // 000000009524: E05C1000 8083942A
	v_mfma_i32_16x16x32_i8 v[192:195], a[38:39], v[138:139], v[192:195]// 00000000952C: D3D700C0 0F031526
	v_mfma_i32_16x16x32_i8 v[196:199], a[36:37], v[164:165], v[196:199]// 000000009534: D3D700C4 0F134924
	v_mfma_i32_16x16x32_i8 v[196:199], a[38:39], v[166:167], v[196:199]// 00000000953C: D3D700C4 0F134D26
	v_mfma_i32_16x16x32_i8 v[200:203], a[40:41], v[136:137], v[200:203]// 000000009544: D3D700C8 0F231128
	buffer_load_dwordx4 a[152:155], v43, s[12:15], 0 offen     // 00000000954C: E05C1000 8083982B
	v_mfma_i32_16x16x32_i8 v[200:203], a[42:43], v[138:139], v[200:203]// 000000009554: D3D700C8 0F23152A
	v_mfma_i32_16x16x32_i8 v[204:207], a[40:41], v[164:165], v[204:207]// 00000000955C: D3D700CC 0F334928
	v_mfma_i32_16x16x32_i8 v[204:207], a[42:43], v[166:167], v[204:207]// 000000009564: D3D700CC 0F334D2A
	v_mfma_i32_16x16x32_i8 v[208:211], a[44:45], v[136:137], v[208:211]// 00000000956C: D3D700D0 0F43112C
	buffer_load_dwordx4 a[156:159], v44, s[12:15], 0 offen     // 000000009574: E05C1000 80839C2C
	s_add_u32 s12, s78, s12                                    // 00000000957C: 800C0C4E
	s_addc_u32 s13, 0, s13                                     // 000000009580: 820D0D80
	v_mfma_i32_16x16x32_i8 v[208:211], a[46:47], v[138:139], v[208:211]// 000000009584: D3D700D0 0F43152E
	v_mfma_i32_16x16x32_i8 v[212:215], a[44:45], v[164:165], v[212:215]// 00000000958C: D3D700D4 0F53492C
	v_mfma_i32_16x16x32_i8 v[212:215], a[46:47], v[166:167], v[212:215]// 000000009594: D3D700D4 0F534D2E
	s_waitcnt vmcnt(41)                                        // 00000000959C: BF8C8F79
	v_mfma_i32_16x16x32_i8 v[184:187], a[48:49], v[140:141], v[184:187]// 0000000095A0: D3D700B8 0EE31930
	buffer_load_dwordx4 a[160:163], v41, s[12:15], 0 offen     // 0000000095A8: E05C1000 8083A029
	v_mfma_i32_16x16x32_i8 v[184:187], a[50:51], v[142:143], v[184:187]// 0000000095B0: D3D700B8 0EE31D32
	v_mfma_i32_16x16x32_i8 v[188:191], a[48:49], v[168:169], v[188:191]// 0000000095B8: D3D700BC 0EF35130
	v_mfma_i32_16x16x32_i8 v[188:191], a[50:51], v[170:171], v[188:191]// 0000000095C0: D3D700BC 0EF35532
	v_mfma_i32_16x16x32_i8 v[192:195], a[52:53], v[140:141], v[192:195]// 0000000095C8: D3D700C0 0F031934
	buffer_load_dwordx4 a[164:167], v42, s[12:15], 0 offen     // 0000000095D0: E05C1000 8083A42A
	v_mfma_i32_16x16x32_i8 v[192:195], a[54:55], v[142:143], v[192:195]// 0000000095D8: D3D700C0 0F031D36
	v_mfma_i32_16x16x32_i8 v[196:199], a[52:53], v[168:169], v[196:199]// 0000000095E0: D3D700C4 0F135134
	v_mfma_i32_16x16x32_i8 v[196:199], a[54:55], v[170:171], v[196:199]// 0000000095E8: D3D700C4 0F135536
	v_mfma_i32_16x16x32_i8 v[200:203], a[56:57], v[140:141], v[200:203]// 0000000095F0: D3D700C8 0F231938
	buffer_load_dwordx4 a[168:171], v43, s[12:15], 0 offen     // 0000000095F8: E05C1000 8083A82B
	v_mfma_i32_16x16x32_i8 v[200:203], a[58:59], v[142:143], v[200:203]// 000000009600: D3D700C8 0F231D3A
	v_mfma_i32_16x16x32_i8 v[204:207], a[56:57], v[168:169], v[204:207]// 000000009608: D3D700CC 0F335138
	v_mfma_i32_16x16x32_i8 v[204:207], a[58:59], v[170:171], v[204:207]// 000000009610: D3D700CC 0F33553A
	v_mfma_i32_16x16x32_i8 v[208:211], a[60:61], v[140:141], v[208:211]// 000000009618: D3D700D0 0F43193C
	buffer_load_dwordx4 a[172:175], v44, s[12:15], 0 offen     // 000000009620: E05C1000 8083AC2C
	s_add_u32 s12, s78, s12                                    // 000000009628: 800C0C4E
	s_addc_u32 s13, 0, s13                                     // 00000000962C: 820D0D80
	v_mfma_i32_16x16x32_i8 v[208:211], a[62:63], v[142:143], v[208:211]// 000000009630: D3D700D0 0F431D3E
	v_mfma_i32_16x16x32_i8 v[212:215], a[60:61], v[168:169], v[212:215]// 000000009638: D3D700D4 0F53513C
	v_mfma_i32_16x16x32_i8 v[212:215], a[62:63], v[170:171], v[212:215]// 000000009640: D3D700D4 0F53553E
	s_waitcnt vmcnt(41)                                        // 000000009648: BF8C8F79
	v_mfma_i32_16x16x32_i8 v[184:187], a[64:65], v[144:145], v[184:187]// 00000000964C: D3D700B8 0EE32140
	buffer_load_dwordx4 a[176:179], v41, s[12:15], 0 offen     // 000000009654: E05C1000 8083B029
	v_mfma_i32_16x16x32_i8 v[184:187], a[66:67], v[146:147], v[184:187]// 00000000965C: D3D700B8 0EE32542
	v_mfma_i32_16x16x32_i8 v[188:191], a[64:65], v[172:173], v[188:191]// 000000009664: D3D700BC 0EF35940
	v_mfma_i32_16x16x32_i8 v[188:191], a[66:67], v[174:175], v[188:191]// 00000000966C: D3D700BC 0EF35D42
	v_mfma_i32_16x16x32_i8 v[192:195], a[68:69], v[144:145], v[192:195]// 000000009674: D3D700C0 0F032144
	buffer_load_dwordx4 a[180:183], v42, s[12:15], 0 offen     // 00000000967C: E05C1000 8083B42A
	v_mfma_i32_16x16x32_i8 v[192:195], a[70:71], v[146:147], v[192:195]// 000000009684: D3D700C0 0F032546
	v_mfma_i32_16x16x32_i8 v[196:199], a[68:69], v[172:173], v[196:199]// 00000000968C: D3D700C4 0F135944
	v_mfma_i32_16x16x32_i8 v[196:199], a[70:71], v[174:175], v[196:199]// 000000009694: D3D700C4 0F135D46
	v_mfma_i32_16x16x32_i8 v[200:203], a[72:73], v[144:145], v[200:203]// 00000000969C: D3D700C8 0F232148
	buffer_load_dwordx4 a[184:187], v43, s[12:15], 0 offen     // 0000000096A4: E05C1000 8083B82B
	v_mfma_i32_16x16x32_i8 v[200:203], a[74:75], v[146:147], v[200:203]// 0000000096AC: D3D700C8 0F23254A
	v_mfma_i32_16x16x32_i8 v[204:207], a[72:73], v[172:173], v[204:207]// 0000000096B4: D3D700CC 0F335948
	v_mfma_i32_16x16x32_i8 v[204:207], a[74:75], v[174:175], v[204:207]// 0000000096BC: D3D700CC 0F335D4A
	v_mfma_i32_16x16x32_i8 v[208:211], a[76:77], v[144:145], v[208:211]// 0000000096C4: D3D700D0 0F43214C
	buffer_load_dwordx4 a[188:191], v44, s[12:15], 0 offen     // 0000000096CC: E05C1000 8083BC2C
	s_add_u32 s12, s78, s12                                    // 0000000096D4: 800C0C4E
	s_addc_u32 s13, 0, s13                                     // 0000000096D8: 820D0D80
	v_mfma_i32_16x16x32_i8 v[208:211], a[78:79], v[146:147], v[208:211]// 0000000096DC: D3D700D0 0F43254E
	v_mfma_i32_16x16x32_i8 v[212:215], a[76:77], v[172:173], v[212:215]// 0000000096E4: D3D700D4 0F53594C
	v_mfma_i32_16x16x32_i8 v[212:215], a[78:79], v[174:175], v[212:215]// 0000000096EC: D3D700D4 0F535D4E
	s_waitcnt vmcnt(41)                                        // 0000000096F4: BF8C8F79
	v_mfma_i32_16x16x32_i8 v[184:187], a[80:81], v[148:149], v[184:187]// 0000000096F8: D3D700B8 0EE32950
	buffer_load_dwordx4 a[192:195], v41, s[12:15], 0 offen     // 000000009700: E05C1000 8083C029
	v_mfma_i32_16x16x32_i8 v[184:187], a[82:83], v[150:151], v[184:187]// 000000009708: D3D700B8 0EE32D52
	v_mfma_i32_16x16x32_i8 v[188:191], a[80:81], v[176:177], v[188:191]// 000000009710: D3D700BC 0EF36150
	v_mfma_i32_16x16x32_i8 v[188:191], a[82:83], v[178:179], v[188:191]// 000000009718: D3D700BC 0EF36552
	v_mfma_i32_16x16x32_i8 v[192:195], a[84:85], v[148:149], v[192:195]// 000000009720: D3D700C0 0F032954
	buffer_load_dwordx4 a[196:199], v42, s[12:15], 0 offen     // 000000009728: E05C1000 8083C42A
	v_mfma_i32_16x16x32_i8 v[192:195], a[86:87], v[150:151], v[192:195]// 000000009730: D3D700C0 0F032D56
	v_mfma_i32_16x16x32_i8 v[196:199], a[84:85], v[176:177], v[196:199]// 000000009738: D3D700C4 0F136154
	v_mfma_i32_16x16x32_i8 v[196:199], a[86:87], v[178:179], v[196:199]// 000000009740: D3D700C4 0F136556
	v_mfma_i32_16x16x32_i8 v[200:203], a[88:89], v[148:149], v[200:203]// 000000009748: D3D700C8 0F232958
	buffer_load_dwordx4 a[200:203], v43, s[12:15], 0 offen     // 000000009750: E05C1000 8083C82B
	v_mfma_i32_16x16x32_i8 v[200:203], a[90:91], v[150:151], v[200:203]// 000000009758: D3D700C8 0F232D5A
	v_mfma_i32_16x16x32_i8 v[204:207], a[88:89], v[176:177], v[204:207]// 000000009760: D3D700CC 0F336158
	v_mfma_i32_16x16x32_i8 v[204:207], a[90:91], v[178:179], v[204:207]// 000000009768: D3D700CC 0F33655A
	v_mfma_i32_16x16x32_i8 v[208:211], a[92:93], v[148:149], v[208:211]// 000000009770: D3D700D0 0F43295C
	buffer_load_dwordx4 a[204:207], v44, s[12:15], 0 offen     // 000000009778: E05C1000 8083CC2C
	s_add_u32 s12, s78, s12                                    // 000000009780: 800C0C4E
	s_addc_u32 s13, 0, s13                                     // 000000009784: 820D0D80
	v_mfma_i32_16x16x32_i8 v[208:211], a[94:95], v[150:151], v[208:211]// 000000009788: D3D700D0 0F432D5E
	v_mfma_i32_16x16x32_i8 v[212:215], a[92:93], v[176:177], v[212:215]// 000000009790: D3D700D4 0F53615C
	v_mfma_i32_16x16x32_i8 v[212:215], a[94:95], v[178:179], v[212:215]// 000000009798: D3D700D4 0F53655E
	s_waitcnt vmcnt(40)                                        // 0000000097A0: BF8C8F78
	v_mfma_i32_16x16x32_i8 v[184:187], a[96:97], v[152:153], v[184:187]// 0000000097A4: D3D700B8 0EE33160
	buffer_load_dwordx4 a[208:211], v41, s[12:15], 0 offen     // 0000000097AC: E05C1000 8083D029
	v_mfma_i32_16x16x32_i8 v[184:187], a[98:99], v[154:155], v[184:187]// 0000000097B4: D3D700B8 0EE33562
	v_mfma_i32_16x16x32_i8 v[188:191], a[96:97], v[180:181], v[188:191]// 0000000097BC: D3D700BC 0EF36960
	buffer_load_dword v13, v5, s[16:19], 0 offen               // 0000000097C4: E0501000 80040D05
	v_mfma_i32_16x16x32_i8 v[188:191], a[98:99], v[182:183], v[188:191]// 0000000097CC: D3D700BC 0EF36D62
	v_mfma_i32_16x16x32_i8 v[192:195], a[100:101], v[152:153], v[192:195]// 0000000097D4: D3D700C0 0F033164
	buffer_load_dwordx4 a[212:215], v42, s[12:15], 0 offen     // 0000000097DC: E05C1000 8083D42A
	v_mfma_i32_16x16x32_i8 v[192:195], a[102:103], v[154:155], v[192:195]// 0000000097E4: D3D700C0 0F033566
	v_mfma_i32_16x16x32_i8 v[196:199], a[100:101], v[180:181], v[196:199]// 0000000097EC: D3D700C4 0F136964
	v_mfma_i32_16x16x32_i8 v[196:199], a[102:103], v[182:183], v[196:199]// 0000000097F4: D3D700C4 0F136D66
	v_mfma_i32_16x16x32_i8 v[200:203], a[104:105], v[152:153], v[200:203]// 0000000097FC: D3D700C8 0F233168
	buffer_load_dwordx4 a[216:219], v43, s[12:15], 0 offen     // 000000009804: E05C1000 8083D82B
	v_mfma_i32_16x16x32_i8 v[200:203], a[106:107], v[154:155], v[200:203]// 00000000980C: D3D700C8 0F23356A
	v_mfma_i32_16x16x32_i8 v[204:207], a[104:105], v[180:181], v[204:207]// 000000009814: D3D700CC 0F336968
	v_mfma_i32_16x16x32_i8 v[204:207], a[106:107], v[182:183], v[204:207]// 00000000981C: D3D700CC 0F336D6A
	v_mfma_i32_16x16x32_i8 v[208:211], a[108:109], v[152:153], v[208:211]// 000000009824: D3D700D0 0F43316C
	buffer_load_dwordx4 a[220:223], v44, s[12:15], 0 offen     // 00000000982C: E05C1000 8083DC2C
	v_mfma_i32_16x16x32_i8 v[208:211], a[110:111], v[154:155], v[208:211]// 000000009834: D3D700D0 0F43356E
	v_mfma_i32_16x16x32_i8 v[212:215], a[108:109], v[180:181], v[212:215]// 00000000983C: D3D700D4 0F53696C
	v_mfma_i32_16x16x32_i8 v[212:215], a[110:111], v[182:183], v[212:215]// 000000009844: D3D700D4 0F536D6E
	s_add_u32 s60, 0x200, s80                                  // 00000000984C: 803C50FF 00000200
	s_cmp_lt_u32 s60, s81                                      // 000000009854: BF0A513C
	s_cselect_b32 s56, s56, 0                                  // 000000009858: 85388038
	s_cselect_b32 s78, s78, 0                                  // 00000000985C: 854E804E
	s_cselect_b32 s79, s79, 0                                  // 000000009860: 854F804F
	s_add_u32 s12, s56, s12                                    // 000000009864: 800C0C38
	s_addc_u32 s13, 0, s13                                     // 000000009868: 820D0D80
	s_add_u32 s16, s79, s16                                    // 00000000986C: 8010104F
	s_addc_u32 s17, 0, s17                                     // 000000009870: 82111180
	v_cvt_f32_i32_e32 v184, v184                               // 000000009874: 7F700BB8
	v_cvt_f32_i32_e32 v185, v185                               // 000000009878: 7F720BB9
	v_cvt_f32_i32_e32 v186, v186                               // 00000000987C: 7F740BBA
	v_cvt_f32_i32_e32 v187, v187                               // 000000009880: 7F760BBB
	v_mul_f32_e32 v184, v24, v184                              // 000000009884: 0B717118
	v_mul_f32_e32 v185, v24, v185                              // 000000009888: 0B737318
	v_mul_f32_e32 v186, v24, v186                              // 00000000988C: 0B757518
	v_mul_f32_e32 v187, v24, v187                              // 000000009890: 0B777718
	v_mul_f32_dpp v184, v12, v184 row_newbcast:0 row_mask:0xf bank_mask:0xf// 000000009894: 0B7170FA FF01500C
	v_mul_f32_dpp v185, v12, v185 row_newbcast:1 row_mask:0xf bank_mask:0xf// 00000000989C: 0B7372FA FF01510C
	v_mul_f32_dpp v186, v12, v186 row_newbcast:2 row_mask:0xf bank_mask:0xf// 0000000098A4: 0B7574FA FF01520C
	v_mul_f32_dpp v187, v12, v187 row_newbcast:3 row_mask:0xf bank_mask:0xf// 0000000098AC: 0B7776FA FF01530C
	v_mul_f32_e32 v184, v20, v184                              // 0000000098B4: 0B717114
	v_mul_f32_e32 v185, v20, v185                              // 0000000098B8: 0B737314
	v_mul_f32_e32 v186, v20, v186                              // 0000000098BC: 0B757514
	v_mul_f32_e32 v187, v20, v187                              // 0000000098C0: 0B777714
	v_cvt_f32_i32_e32 v188, v188                               // 0000000098C4: 7F780BBC
	v_cvt_f32_i32_e32 v189, v189                               // 0000000098C8: 7F7A0BBD
	v_cvt_f32_i32_e32 v190, v190                               // 0000000098CC: 7F7C0BBE
	v_cvt_f32_i32_e32 v191, v191                               // 0000000098D0: 7F7E0BBF
	v_mul_f32_e32 v188, v25, v188                              // 0000000098D4: 0B797919
	v_mul_f32_e32 v189, v25, v189                              // 0000000098D8: 0B7B7B19
	v_mul_f32_e32 v190, v25, v190                              // 0000000098DC: 0B7D7D19
	v_mul_f32_e32 v191, v25, v191                              // 0000000098E0: 0B7F7F19
	v_mul_f32_dpp v188, v12, v188 row_newbcast:0 row_mask:0xf bank_mask:0xf// 0000000098E4: 0B7978FA FF01500C
	v_mul_f32_dpp v189, v12, v189 row_newbcast:1 row_mask:0xf bank_mask:0xf// 0000000098EC: 0B7B7AFA FF01510C
	v_mul_f32_dpp v190, v12, v190 row_newbcast:2 row_mask:0xf bank_mask:0xf// 0000000098F4: 0B7D7CFA FF01520C
	v_mul_f32_dpp v191, v12, v191 row_newbcast:3 row_mask:0xf bank_mask:0xf// 0000000098FC: 0B7F7EFA FF01530C
	v_mul_f32_e32 v188, v21, v188                              // 000000009904: 0B797915
	v_mul_f32_e32 v189, v21, v189                              // 000000009908: 0B7B7B15
	v_mul_f32_e32 v190, v21, v190                              // 00000000990C: 0B7D7D15
	v_mul_f32_e32 v191, v21, v191                              // 000000009910: 0B7F7F15
	v_cvt_f32_i32_e32 v192, v192                               // 000000009914: 7F800BC0
	v_cvt_f32_i32_e32 v193, v193                               // 000000009918: 7F820BC1
	v_cvt_f32_i32_e32 v194, v194                               // 00000000991C: 7F840BC2
	v_cvt_f32_i32_e32 v195, v195                               // 000000009920: 7F860BC3
	v_mul_f32_e32 v192, v24, v192                              // 000000009924: 0B818118
	v_mul_f32_e32 v193, v24, v193                              // 000000009928: 0B838318
	v_mul_f32_e32 v194, v24, v194                              // 00000000992C: 0B858518
	v_mul_f32_e32 v195, v24, v195                              // 000000009930: 0B878718
	v_mul_f32_dpp v192, v12, v192 row_newbcast:4 row_mask:0xf bank_mask:0xf// 000000009934: 0B8180FA FF01540C
	v_mul_f32_dpp v193, v12, v193 row_newbcast:5 row_mask:0xf bank_mask:0xf// 00000000993C: 0B8382FA FF01550C
	v_mul_f32_dpp v194, v12, v194 row_newbcast:6 row_mask:0xf bank_mask:0xf// 000000009944: 0B8584FA FF01560C
	v_mul_f32_dpp v195, v12, v195 row_newbcast:7 row_mask:0xf bank_mask:0xf// 00000000994C: 0B8786FA FF01570C
	v_mul_f32_e32 v192, v20, v192                              // 000000009954: 0B818114
	v_mul_f32_e32 v193, v20, v193                              // 000000009958: 0B838314
	v_mul_f32_e32 v194, v20, v194                              // 00000000995C: 0B858514
	v_mul_f32_e32 v195, v20, v195                              // 000000009960: 0B878714
	v_cvt_f32_i32_e32 v196, v196                               // 000000009964: 7F880BC4
	v_cvt_f32_i32_e32 v197, v197                               // 000000009968: 7F8A0BC5
	v_cvt_f32_i32_e32 v198, v198                               // 00000000996C: 7F8C0BC6
	v_cvt_f32_i32_e32 v199, v199                               // 000000009970: 7F8E0BC7
	v_mul_f32_e32 v196, v25, v196                              // 000000009974: 0B898919
	v_mul_f32_e32 v197, v25, v197                              // 000000009978: 0B8B8B19
	v_mul_f32_e32 v198, v25, v198                              // 00000000997C: 0B8D8D19
	v_mul_f32_e32 v199, v25, v199                              // 000000009980: 0B8F8F19
	v_mul_f32_dpp v196, v12, v196 row_newbcast:4 row_mask:0xf bank_mask:0xf// 000000009984: 0B8988FA FF01540C
	v_mul_f32_dpp v197, v12, v197 row_newbcast:5 row_mask:0xf bank_mask:0xf// 00000000998C: 0B8B8AFA FF01550C
	v_mul_f32_dpp v198, v12, v198 row_newbcast:6 row_mask:0xf bank_mask:0xf// 000000009994: 0B8D8CFA FF01560C
	v_mul_f32_dpp v199, v12, v199 row_newbcast:7 row_mask:0xf bank_mask:0xf// 00000000999C: 0B8F8EFA FF01570C
	v_mul_f32_e32 v196, v21, v196                              // 0000000099A4: 0B898915
	v_mul_f32_e32 v197, v21, v197                              // 0000000099A8: 0B8B8B15
	v_mul_f32_e32 v198, v21, v198                              // 0000000099AC: 0B8D8D15
	v_mul_f32_e32 v199, v21, v199                              // 0000000099B0: 0B8F8F15
	v_cvt_f32_i32_e32 v200, v200                               // 0000000099B4: 7F900BC8
	v_cvt_f32_i32_e32 v201, v201                               // 0000000099B8: 7F920BC9
	v_cvt_f32_i32_e32 v202, v202                               // 0000000099BC: 7F940BCA
	v_cvt_f32_i32_e32 v203, v203                               // 0000000099C0: 7F960BCB
	v_mul_f32_e32 v200, v24, v200                              // 0000000099C4: 0B919118
	v_mul_f32_e32 v201, v24, v201                              // 0000000099C8: 0B939318
	v_mul_f32_e32 v202, v24, v202                              // 0000000099CC: 0B959518
	v_mul_f32_e32 v203, v24, v203                              // 0000000099D0: 0B979718
	v_mul_f32_dpp v200, v12, v200 row_newbcast:8 row_mask:0xf bank_mask:0xf// 0000000099D4: 0B9190FA FF01580C
	v_mul_f32_dpp v201, v12, v201 row_newbcast:9 row_mask:0xf bank_mask:0xf// 0000000099DC: 0B9392FA FF01590C
	v_mul_f32_dpp v202, v12, v202 row_newbcast:10 row_mask:0xf bank_mask:0xf// 0000000099E4: 0B9594FA FF015A0C
	v_mul_f32_dpp v203, v12, v203 row_newbcast:11 row_mask:0xf bank_mask:0xf// 0000000099EC: 0B9796FA FF015B0C
	v_mul_f32_e32 v200, v20, v200                              // 0000000099F4: 0B919114
	v_mul_f32_e32 v201, v20, v201                              // 0000000099F8: 0B939314
	v_mul_f32_e32 v202, v20, v202                              // 0000000099FC: 0B959514
	v_mul_f32_e32 v203, v20, v203                              // 000000009A00: 0B979714
	v_cvt_f32_i32_e32 v204, v204                               // 000000009A04: 7F980BCC
	v_cvt_f32_i32_e32 v205, v205                               // 000000009A08: 7F9A0BCD
	v_cvt_f32_i32_e32 v206, v206                               // 000000009A0C: 7F9C0BCE
	v_cvt_f32_i32_e32 v207, v207                               // 000000009A10: 7F9E0BCF
	v_mul_f32_e32 v204, v25, v204                              // 000000009A14: 0B999919
	v_mul_f32_e32 v205, v25, v205                              // 000000009A18: 0B9B9B19
	v_mul_f32_e32 v206, v25, v206                              // 000000009A1C: 0B9D9D19
	v_mul_f32_e32 v207, v25, v207                              // 000000009A20: 0B9F9F19
	v_mul_f32_dpp v204, v12, v204 row_newbcast:8 row_mask:0xf bank_mask:0xf// 000000009A24: 0B9998FA FF01580C
	v_mul_f32_dpp v205, v12, v205 row_newbcast:9 row_mask:0xf bank_mask:0xf// 000000009A2C: 0B9B9AFA FF01590C
	v_mul_f32_dpp v206, v12, v206 row_newbcast:10 row_mask:0xf bank_mask:0xf// 000000009A34: 0B9D9CFA FF015A0C
	v_mul_f32_dpp v207, v12, v207 row_newbcast:11 row_mask:0xf bank_mask:0xf// 000000009A3C: 0B9F9EFA FF015B0C
	v_mul_f32_e32 v204, v21, v204                              // 000000009A44: 0B999915
	v_mul_f32_e32 v205, v21, v205                              // 000000009A48: 0B9B9B15
	v_mul_f32_e32 v206, v21, v206                              // 000000009A4C: 0B9D9D15
	v_mul_f32_e32 v207, v21, v207                              // 000000009A50: 0B9F9F15
	v_cvt_f32_i32_e32 v208, v208                               // 000000009A54: 7FA00BD0
	v_cvt_f32_i32_e32 v209, v209                               // 000000009A58: 7FA20BD1
	v_cvt_f32_i32_e32 v210, v210                               // 000000009A5C: 7FA40BD2
	v_cvt_f32_i32_e32 v211, v211                               // 000000009A60: 7FA60BD3
	v_mul_f32_e32 v208, v24, v208                              // 000000009A64: 0BA1A118
	v_mul_f32_e32 v209, v24, v209                              // 000000009A68: 0BA3A318
	v_mul_f32_e32 v210, v24, v210                              // 000000009A6C: 0BA5A518
	v_mul_f32_e32 v211, v24, v211                              // 000000009A70: 0BA7A718
	v_mul_f32_dpp v208, v12, v208 row_newbcast:12 row_mask:0xf bank_mask:0xf// 000000009A74: 0BA1A0FA FF015C0C
	v_mul_f32_dpp v209, v12, v209 row_newbcast:13 row_mask:0xf bank_mask:0xf// 000000009A7C: 0BA3A2FA FF015D0C
	v_mul_f32_dpp v210, v12, v210 row_newbcast:14 row_mask:0xf bank_mask:0xf// 000000009A84: 0BA5A4FA FF015E0C
	v_mul_f32_dpp v211, v12, v211 row_newbcast:15 row_mask:0xf bank_mask:0xf// 000000009A8C: 0BA7A6FA FF015F0C
	v_mul_f32_e32 v208, v20, v208                              // 000000009A94: 0BA1A114
	v_mul_f32_e32 v209, v20, v209                              // 000000009A98: 0BA3A314
	v_mul_f32_e32 v210, v20, v210                              // 000000009A9C: 0BA5A514
	v_mul_f32_e32 v211, v20, v211                              // 000000009AA0: 0BA7A714
	v_cvt_f32_i32_e32 v212, v212                               // 000000009AA4: 7FA80BD4
	v_cvt_f32_i32_e32 v213, v213                               // 000000009AA8: 7FAA0BD5
	v_cvt_f32_i32_e32 v214, v214                               // 000000009AAC: 7FAC0BD6
	v_cvt_f32_i32_e32 v215, v215                               // 000000009AB0: 7FAE0BD7
	v_mul_f32_e32 v212, v25, v212                              // 000000009AB4: 0BA9A919
	v_mul_f32_e32 v213, v25, v213                              // 000000009AB8: 0BABAB19
	v_mul_f32_e32 v214, v25, v214                              // 000000009ABC: 0BADAD19
	v_mul_f32_e32 v215, v25, v215                              // 000000009AC0: 0BAFAF19
	v_mul_f32_dpp v212, v12, v212 row_newbcast:12 row_mask:0xf bank_mask:0xf// 000000009AC4: 0BA9A8FA FF015C0C
	v_mul_f32_dpp v213, v12, v213 row_newbcast:13 row_mask:0xf bank_mask:0xf// 000000009ACC: 0BABAAFA FF015D0C
	v_mul_f32_dpp v214, v12, v214 row_newbcast:14 row_mask:0xf bank_mask:0xf// 000000009AD4: 0BADACFA FF015E0C
	v_mul_f32_dpp v215, v12, v215 row_newbcast:15 row_mask:0xf bank_mask:0xf// 000000009ADC: 0BAFAEFA FF015F0C
	v_mul_f32_e32 v212, v21, v212                              // 000000009AE4: 0BA9A915
	v_mul_f32_e32 v213, v21, v213                              // 000000009AE8: 0BABAB15
	v_mul_f32_e32 v214, v21, v214                              // 000000009AEC: 0BADAD15
	v_mul_f32_e32 v215, v21, v215                              // 000000009AF0: 0BAFAF15
	v_cmp_u_f32_e64 s[48:49], v184, v184                       // 000000009AF4: D0480030 000371B8
	v_add3_u32 v45, v184, v48, 1                               // 000000009AFC: D1FF002D 020661B8
	v_cndmask_b32_e64 v50, v45, v47, s[48:49]                  // 000000009B04: D1000032 00C25F2D
	v_cmp_u_f32_e64 s[48:49], v185, v185                       // 000000009B0C: D0480030 000373B9
	v_add3_u32 v45, v185, v48, 1                               // 000000009B14: D1FF002D 020661B9
	v_cndmask_b32_e64 v51, v45, v47, s[48:49]                  // 000000009B1C: D1000033 00C25F2D
	v_perm_b32 v184, v51, v50, s52                             // 000000009B24: D1ED00B8 00D26533
	v_cmp_u_f32_e64 s[48:49], v186, v186                       // 000000009B2C: D0480030 000375BA
	v_add3_u32 v45, v186, v48, 1                               // 000000009B34: D1FF002D 020661BA
	v_cndmask_b32_e64 v50, v45, v47, s[48:49]                  // 000000009B3C: D1000032 00C25F2D
	v_cmp_u_f32_e64 s[48:49], v187, v187                       // 000000009B44: D0480030 000377BB
	v_add3_u32 v45, v187, v48, 1                               // 000000009B4C: D1FF002D 020661BB
	v_cndmask_b32_e64 v51, v45, v47, s[48:49]                  // 000000009B54: D1000033 00C25F2D
	v_perm_b32 v185, v51, v50, s52                             // 000000009B5C: D1ED00B9 00D26533
	v_cmp_u_f32_e64 s[48:49], v188, v188                       // 000000009B64: D0480030 000379BC
	v_add3_u32 v45, v188, v48, 1                               // 000000009B6C: D1FF002D 020661BC
	v_cndmask_b32_e64 v50, v45, v47, s[48:49]                  // 000000009B74: D1000032 00C25F2D
	v_cmp_u_f32_e64 s[48:49], v189, v189                       // 000000009B7C: D0480030 00037BBD
	v_add3_u32 v45, v189, v48, 1                               // 000000009B84: D1FF002D 020661BD
	v_cndmask_b32_e64 v51, v45, v47, s[48:49]                  // 000000009B8C: D1000033 00C25F2D
	v_perm_b32 v186, v51, v50, s52                             // 000000009B94: D1ED00BA 00D26533
	v_cmp_u_f32_e64 s[48:49], v190, v190                       // 000000009B9C: D0480030 00037DBE
	v_add3_u32 v45, v190, v48, 1                               // 000000009BA4: D1FF002D 020661BE
	v_cndmask_b32_e64 v50, v45, v47, s[48:49]                  // 000000009BAC: D1000032 00C25F2D
	v_cmp_u_f32_e64 s[48:49], v191, v191                       // 000000009BB4: D0480030 00037FBF
	v_add3_u32 v45, v191, v48, 1                               // 000000009BBC: D1FF002D 020661BF
	v_cndmask_b32_e64 v51, v45, v47, s[48:49]                  // 000000009BC4: D1000033 00C25F2D
	v_perm_b32 v187, v51, v50, s52                             // 000000009BCC: D1ED00BB 00D26533
	v_cmp_u_f32_e64 s[48:49], v192, v192                       // 000000009BD4: D0480030 000381C0
	v_add3_u32 v45, v192, v48, 1                               // 000000009BDC: D1FF002D 020661C0
	v_cndmask_b32_e64 v50, v45, v47, s[48:49]                  // 000000009BE4: D1000032 00C25F2D
	v_cmp_u_f32_e64 s[48:49], v193, v193                       // 000000009BEC: D0480030 000383C1
	v_add3_u32 v45, v193, v48, 1                               // 000000009BF4: D1FF002D 020661C1
	v_cndmask_b32_e64 v51, v45, v47, s[48:49]                  // 000000009BFC: D1000033 00C25F2D
	v_perm_b32 v188, v51, v50, s52                             // 000000009C04: D1ED00BC 00D26533
	v_cmp_u_f32_e64 s[48:49], v194, v194                       // 000000009C0C: D0480030 000385C2
	v_add3_u32 v45, v194, v48, 1                               // 000000009C14: D1FF002D 020661C2
	v_cndmask_b32_e64 v50, v45, v47, s[48:49]                  // 000000009C1C: D1000032 00C25F2D
	v_cmp_u_f32_e64 s[48:49], v195, v195                       // 000000009C24: D0480030 000387C3
	v_add3_u32 v45, v195, v48, 1                               // 000000009C2C: D1FF002D 020661C3
	v_cndmask_b32_e64 v51, v45, v47, s[48:49]                  // 000000009C34: D1000033 00C25F2D
	v_perm_b32 v189, v51, v50, s52                             // 000000009C3C: D1ED00BD 00D26533
	v_cmp_u_f32_e64 s[48:49], v196, v196                       // 000000009C44: D0480030 000389C4
	v_add3_u32 v45, v196, v48, 1                               // 000000009C4C: D1FF002D 020661C4
	v_cndmask_b32_e64 v50, v45, v47, s[48:49]                  // 000000009C54: D1000032 00C25F2D
	v_cmp_u_f32_e64 s[48:49], v197, v197                       // 000000009C5C: D0480030 00038BC5
	v_add3_u32 v45, v197, v48, 1                               // 000000009C64: D1FF002D 020661C5
	v_cndmask_b32_e64 v51, v45, v47, s[48:49]                  // 000000009C6C: D1000033 00C25F2D
	v_perm_b32 v190, v51, v50, s52                             // 000000009C74: D1ED00BE 00D26533
	v_cmp_u_f32_e64 s[48:49], v198, v198                       // 000000009C7C: D0480030 00038DC6
	v_add3_u32 v45, v198, v48, 1                               // 000000009C84: D1FF002D 020661C6
	v_cndmask_b32_e64 v50, v45, v47, s[48:49]                  // 000000009C8C: D1000032 00C25F2D
	v_cmp_u_f32_e64 s[48:49], v199, v199                       // 000000009C94: D0480030 00038FC7
	v_add3_u32 v45, v199, v48, 1                               // 000000009C9C: D1FF002D 020661C7
	v_cndmask_b32_e64 v51, v45, v47, s[48:49]                  // 000000009CA4: D1000033 00C25F2D
	v_perm_b32 v191, v51, v50, s52                             // 000000009CAC: D1ED00BF 00D26533
	v_cmp_u_f32_e64 s[48:49], v200, v200                       // 000000009CB4: D0480030 000391C8
	v_add3_u32 v45, v200, v48, 1                               // 000000009CBC: D1FF002D 020661C8
	v_cndmask_b32_e64 v50, v45, v47, s[48:49]                  // 000000009CC4: D1000032 00C25F2D
	v_cmp_u_f32_e64 s[48:49], v201, v201                       // 000000009CCC: D0480030 000393C9
	v_add3_u32 v45, v201, v48, 1                               // 000000009CD4: D1FF002D 020661C9
	v_cndmask_b32_e64 v51, v45, v47, s[48:49]                  // 000000009CDC: D1000033 00C25F2D
	v_perm_b32 v192, v51, v50, s52                             // 000000009CE4: D1ED00C0 00D26533
	v_cmp_u_f32_e64 s[48:49], v202, v202                       // 000000009CEC: D0480030 000395CA
	v_add3_u32 v45, v202, v48, 1                               // 000000009CF4: D1FF002D 020661CA
	v_cndmask_b32_e64 v50, v45, v47, s[48:49]                  // 000000009CFC: D1000032 00C25F2D
	v_cmp_u_f32_e64 s[48:49], v203, v203                       // 000000009D04: D0480030 000397CB
	v_add3_u32 v45, v203, v48, 1                               // 000000009D0C: D1FF002D 020661CB
	v_cndmask_b32_e64 v51, v45, v47, s[48:49]                  // 000000009D14: D1000033 00C25F2D
	v_perm_b32 v193, v51, v50, s52                             // 000000009D1C: D1ED00C1 00D26533
	v_cmp_u_f32_e64 s[48:49], v204, v204                       // 000000009D24: D0480030 000399CC
	v_add3_u32 v45, v204, v48, 1                               // 000000009D2C: D1FF002D 020661CC
	v_cndmask_b32_e64 v50, v45, v47, s[48:49]                  // 000000009D34: D1000032 00C25F2D
	v_cmp_u_f32_e64 s[48:49], v205, v205                       // 000000009D3C: D0480030 00039BCD
	v_add3_u32 v45, v205, v48, 1                               // 000000009D44: D1FF002D 020661CD
	v_cndmask_b32_e64 v51, v45, v47, s[48:49]                  // 000000009D4C: D1000033 00C25F2D
	v_perm_b32 v194, v51, v50, s52                             // 000000009D54: D1ED00C2 00D26533
	v_cmp_u_f32_e64 s[48:49], v206, v206                       // 000000009D5C: D0480030 00039DCE
	v_add3_u32 v45, v206, v48, 1                               // 000000009D64: D1FF002D 020661CE
	v_cndmask_b32_e64 v50, v45, v47, s[48:49]                  // 000000009D6C: D1000032 00C25F2D
	v_cmp_u_f32_e64 s[48:49], v207, v207                       // 000000009D74: D0480030 00039FCF
	v_add3_u32 v45, v207, v48, 1                               // 000000009D7C: D1FF002D 020661CF
	v_cndmask_b32_e64 v51, v45, v47, s[48:49]                  // 000000009D84: D1000033 00C25F2D
	v_perm_b32 v195, v51, v50, s52                             // 000000009D8C: D1ED00C3 00D26533
	v_cmp_u_f32_e64 s[48:49], v208, v208                       // 000000009D94: D0480030 0003A1D0
	v_add3_u32 v45, v208, v48, 1                               // 000000009D9C: D1FF002D 020661D0
	v_cndmask_b32_e64 v50, v45, v47, s[48:49]                  // 000000009DA4: D1000032 00C25F2D
	v_cmp_u_f32_e64 s[48:49], v209, v209                       // 000000009DAC: D0480030 0003A3D1
	v_add3_u32 v45, v209, v48, 1                               // 000000009DB4: D1FF002D 020661D1
	v_cndmask_b32_e64 v51, v45, v47, s[48:49]                  // 000000009DBC: D1000033 00C25F2D
	v_perm_b32 v196, v51, v50, s52                             // 000000009DC4: D1ED00C4 00D26533
	v_cmp_u_f32_e64 s[48:49], v210, v210                       // 000000009DCC: D0480030 0003A5D2
	v_add3_u32 v45, v210, v48, 1                               // 000000009DD4: D1FF002D 020661D2
	v_cndmask_b32_e64 v50, v45, v47, s[48:49]                  // 000000009DDC: D1000032 00C25F2D
	v_cmp_u_f32_e64 s[48:49], v211, v211                       // 000000009DE4: D0480030 0003A7D3
	v_add3_u32 v45, v211, v48, 1                               // 000000009DEC: D1FF002D 020661D3
	v_cndmask_b32_e64 v51, v45, v47, s[48:49]                  // 000000009DF4: D1000033 00C25F2D
	v_perm_b32 v197, v51, v50, s52                             // 000000009DFC: D1ED00C5 00D26533
	v_cmp_u_f32_e64 s[48:49], v212, v212                       // 000000009E04: D0480030 0003A9D4
	v_add3_u32 v45, v212, v48, 1                               // 000000009E0C: D1FF002D 020661D4
	v_cndmask_b32_e64 v50, v45, v47, s[48:49]                  // 000000009E14: D1000032 00C25F2D
	v_cmp_u_f32_e64 s[48:49], v213, v213                       // 000000009E1C: D0480030 0003ABD5
	v_add3_u32 v45, v213, v48, 1                               // 000000009E24: D1FF002D 020661D5
	v_cndmask_b32_e64 v51, v45, v47, s[48:49]                  // 000000009E2C: D1000033 00C25F2D
	v_perm_b32 v198, v51, v50, s52                             // 000000009E34: D1ED00C6 00D26533
	v_cmp_u_f32_e64 s[48:49], v214, v214                       // 000000009E3C: D0480030 0003ADD6
	v_add3_u32 v45, v214, v48, 1                               // 000000009E44: D1FF002D 020661D6
	v_cndmask_b32_e64 v50, v45, v47, s[48:49]                  // 000000009E4C: D1000032 00C25F2D
	v_cmp_u_f32_e64 s[48:49], v215, v215                       // 000000009E54: D0480030 0003AFD7
	v_add3_u32 v45, v215, v48, 1                               // 000000009E5C: D1FF002D 020661D7
	v_cndmask_b32_e64 v51, v45, v47, s[48:49]                  // 000000009E64: D1000033 00C25F2D
	v_perm_b32 v199, v51, v50, s52                             // 000000009E6C: D1ED00C7 00D26533
	ds_write_b64 v3, v[184:185] offset:33024                   // 000000009E74: D89A8100 0000B803
	ds_write_b64 v3, v[186:187] offset:41728                   // 000000009E7C: D89AA300 0000BA03
	ds_write_b64 v3, v[188:189] offset:35200                   // 000000009E84: D89A8980 0000BC03
	ds_write_b64 v3, v[190:191] offset:43904                   // 000000009E8C: D89AAB80 0000BE03
	ds_write_b64 v3, v[192:193] offset:37376                   // 000000009E94: D89A9200 0000C003
	ds_write_b64 v3, v[194:195] offset:46080                   // 000000009E9C: D89AB400 0000C203
	ds_write_b64 v3, v[196:197] offset:39552                   // 000000009EA4: D89A9A80 0000C403
	ds_write_b64 v3, v[198:199] offset:48256                   // 000000009EAC: D89ABC80 0000C603
	s_waitcnt lgkmcnt(0)                                       // 000000009EB4: BF8CC07F
	s_barrier                                                  // 000000009EB8: BF8A0000
	ds_read_b32 v64, v4 offset:33024                           // 000000009EBC: D86C8100 40000004
	ds_read_b32 v65, v4 offset:37376                           // 000000009EC4: D86C9200 41000004
	ds_read_b32 v66, v4 offset:33056                           // 000000009ECC: D86C8120 42000004
	ds_read_b32 v67, v4 offset:37408                           // 000000009ED4: D86C9220 43000004
	ds_read_b32 v68, v4 offset:33088                           // 000000009EDC: D86C8140 44000004
	ds_read_b32 v69, v4 offset:37440                           // 000000009EE4: D86C9240 45000004
	ds_read_b32 v70, v4 offset:33120                           // 000000009EEC: D86C8160 46000004
	ds_read_b32 v71, v4 offset:37472                           // 000000009EF4: D86C9260 47000004
	ds_read_b32 v72, v4 offset:41728                           // 000000009EFC: D86CA300 48000004
	ds_read_b32 v73, v4 offset:46080                           // 000000009F04: D86CB400 49000004
	ds_read_b32 v74, v4 offset:41760                           // 000000009F0C: D86CA320 4A000004
	ds_read_b32 v75, v4 offset:46112                           // 000000009F14: D86CB420 4B000004
	ds_read_b32 v76, v4 offset:41792                           // 000000009F1C: D86CA340 4C000004
	ds_read_b32 v77, v4 offset:46144                           // 000000009F24: D86CB440 4D000004
	ds_read_b32 v78, v4 offset:41824                           // 000000009F2C: D86CA360 4E000004
	ds_read_b32 v79, v4 offset:46176                           // 000000009F34: D86CB460 4F000004
	s_waitcnt lgkmcnt(0)                                       // 000000009F3C: BF8CC07F
	s_mov_b64 exec, s[20:21]                                   // 000000009F40: BEFE0114
	global_atomic_pk_add_bf16 v80, v64, s[8:9]                 // 000000009F44: DD488000 00084050
	s_mov_b64 exec, s[36:37]                                   // 000000009F4C: BEFE0124
	s_mov_b64 exec, s[20:21]                                   // 000000009F50: BEFE0114
	global_atomic_pk_add_bf16 v80, v65, s[8:9] offset:256      // 000000009F54: DD488100 00084150
	s_mov_b64 exec, s[36:37]                                   // 000000009F5C: BEFE0124
	s_mov_b64 exec, s[22:23]                                   // 000000009F60: BEFE0116
	global_atomic_pk_add_bf16 v82, v66, s[8:9]                 // 000000009F64: DD488000 00084252
	s_mov_b64 exec, s[36:37]                                   // 000000009F6C: BEFE0124
	s_mov_b64 exec, s[22:23]                                   // 000000009F70: BEFE0116
	global_atomic_pk_add_bf16 v82, v67, s[8:9] offset:256      // 000000009F74: DD488100 00084352
	s_mov_b64 exec, s[36:37]                                   // 000000009F7C: BEFE0124
	s_mov_b64 exec, s[24:25]                                   // 000000009F80: BEFE0118
	global_atomic_pk_add_bf16 v84, v68, s[8:9]                 // 000000009F84: DD488000 00084454
	s_mov_b64 exec, s[36:37]                                   // 000000009F8C: BEFE0124
	s_mov_b64 exec, s[24:25]                                   // 000000009F90: BEFE0118
	global_atomic_pk_add_bf16 v84, v69, s[8:9] offset:256      // 000000009F94: DD488100 00084554
	s_mov_b64 exec, s[36:37]                                   // 000000009F9C: BEFE0124
	s_mov_b64 exec, s[26:27]                                   // 000000009FA0: BEFE011A
	global_atomic_pk_add_bf16 v86, v70, s[8:9]                 // 000000009FA4: DD488000 00084656
	s_mov_b64 exec, s[36:37]                                   // 000000009FAC: BEFE0124
	s_mov_b64 exec, s[26:27]                                   // 000000009FB0: BEFE011A
	global_atomic_pk_add_bf16 v86, v71, s[8:9] offset:256      // 000000009FB4: DD488100 00084756
	s_mov_b64 exec, s[36:37]                                   // 000000009FBC: BEFE0124
	s_mov_b64 exec, s[28:29]                                   // 000000009FC0: BEFE011C
	global_atomic_pk_add_bf16 v88, v72, s[8:9]                 // 000000009FC4: DD488000 00084858
	s_mov_b64 exec, s[36:37]                                   // 000000009FCC: BEFE0124
	s_mov_b64 exec, s[28:29]                                   // 000000009FD0: BEFE011C
	global_atomic_pk_add_bf16 v88, v73, s[8:9] offset:256      // 000000009FD4: DD488100 00084958
	s_mov_b64 exec, s[36:37]                                   // 000000009FDC: BEFE0124
	s_mov_b64 exec, s[30:31]                                   // 000000009FE0: BEFE011E
	global_atomic_pk_add_bf16 v90, v74, s[8:9]                 // 000000009FE4: DD488000 00084A5A
	s_mov_b64 exec, s[36:37]                                   // 000000009FEC: BEFE0124
	s_mov_b64 exec, s[30:31]                                   // 000000009FF0: BEFE011E
	global_atomic_pk_add_bf16 v90, v75, s[8:9] offset:256      // 000000009FF4: DD488100 00084B5A
	s_mov_b64 exec, s[36:37]                                   // 000000009FFC: BEFE0124
	s_mov_b64 exec, s[32:33]                                   // 00000000A000: BEFE0120
	global_atomic_pk_add_bf16 v92, v76, s[8:9]                 // 00000000A004: DD488000 00084C5C
	s_mov_b64 exec, s[36:37]                                   // 00000000A00C: BEFE0124
	s_mov_b64 exec, s[32:33]                                   // 00000000A010: BEFE0120
	global_atomic_pk_add_bf16 v92, v77, s[8:9] offset:256      // 00000000A014: DD488100 00084D5C
	s_mov_b64 exec, s[36:37]                                   // 00000000A01C: BEFE0124
	s_mov_b64 exec, s[34:35]                                   // 00000000A020: BEFE0122
	global_atomic_pk_add_bf16 v94, v78, s[8:9]                 // 00000000A024: DD488000 00084E5E
	s_mov_b64 exec, s[36:37]                                   // 00000000A02C: BEFE0124
	s_mov_b64 exec, s[34:35]                                   // 00000000A030: BEFE0122
	global_atomic_pk_add_bf16 v94, v79, s[8:9] offset:256      // 00000000A034: DD488100 00084F5E
	s_mov_b64 exec, s[36:37]                                   // 00000000A03C: BEFE0124
	s_add_u32 s8, s59, s8                                      // 00000000A040: 8008083B
	s_addc_u32 s9, 0, s9                                       // 00000000A044: 82090980
	s_addk_i32 s80, 0x100                                      // 00000000A048: B7500100
	s_cmp_lt_i32 s80, s81                                      // 00000000A04C: BF045150
	s_cbranch_scc0 label_118D                                  // 00000000A050: BF84F438
	s_waitcnt vmcnt(41)                                        // 00000000A054: BF8C8F79
	s_barrier                                                  // 00000000A058: BF8A0000
	v_mfma_i32_16x16x32_i8 v[216:219], a[112:113], v[128:129], 0// 00000000A05C: D3D700D8 0A030170
	buffer_load_dwordx4 a[0:3], v41, s[12:15], 0 offen         // 00000000A064: E05C1000 80830029
	v_mfma_i32_16x16x32_i8 v[216:219], a[114:115], v[130:131], v[216:219]// 00000000A06C: D3D700D8 0F630572
	v_mfma_i32_16x16x32_i8 v[220:223], a[112:113], v[156:157], 0// 00000000A074: D3D700DC 0A033970
	v_mfma_i32_16x16x32_i8 v[220:223], a[114:115], v[158:159], v[220:223]// 00000000A07C: D3D700DC 0F733D72
	v_mfma_i32_16x16x32_i8 v[224:227], a[116:117], v[128:129], 0// 00000000A084: D3D700E0 0A030174
	buffer_load_dwordx4 a[4:7], v42, s[12:15], 0 offen         // 00000000A08C: E05C1000 8083042A
	v_mfma_i32_16x16x32_i8 v[224:227], a[118:119], v[130:131], v[224:227]// 00000000A094: D3D700E0 0F830576
	v_mfma_i32_16x16x32_i8 v[228:231], a[116:117], v[156:157], 0// 00000000A09C: D3D700E4 0A033974
	v_mfma_i32_16x16x32_i8 v[228:231], a[118:119], v[158:159], v[228:231]// 00000000A0A4: D3D700E4 0F933D76
	v_mfma_i32_16x16x32_i8 v[232:235], a[120:121], v[128:129], 0// 00000000A0AC: D3D700E8 0A030178
	buffer_load_dwordx4 a[8:11], v43, s[12:15], 0 offen        // 00000000A0B4: E05C1000 8083082B
	v_mfma_i32_16x16x32_i8 v[232:235], a[122:123], v[130:131], v[232:235]// 00000000A0BC: D3D700E8 0FA3057A
	v_mfma_i32_16x16x32_i8 v[236:239], a[120:121], v[156:157], 0// 00000000A0C4: D3D700EC 0A033978
	v_mfma_i32_16x16x32_i8 v[236:239], a[122:123], v[158:159], v[236:239]// 00000000A0CC: D3D700EC 0FB33D7A
	v_mfma_i32_16x16x32_i8 v[240:243], a[124:125], v[128:129], 0// 00000000A0D4: D3D700F0 0A03017C
	buffer_load_dwordx4 a[12:15], v44, s[12:15], 0 offen       // 00000000A0DC: E05C1000 80830C2C
	s_add_u32 s12, s78, s12                                    // 00000000A0E4: 800C0C4E
	s_addc_u32 s13, 0, s13                                     // 00000000A0E8: 820D0D80
	v_mfma_i32_16x16x32_i8 v[240:243], a[126:127], v[130:131], v[240:243]// 00000000A0EC: D3D700F0 0FC3057E
	v_mfma_i32_16x16x32_i8 v[244:247], a[124:125], v[156:157], 0// 00000000A0F4: D3D700F4 0A03397C
	v_mfma_i32_16x16x32_i8 v[244:247], a[126:127], v[158:159], v[244:247]// 00000000A0FC: D3D700F4 0FD33D7E
	s_waitcnt vmcnt(41)                                        // 00000000A104: BF8C8F79
	v_mfma_i32_16x16x32_i8 v[216:219], a[128:129], v[132:133], v[216:219]// 00000000A108: D3D700D8 0F630980
	buffer_load_dwordx4 a[16:19], v41, s[12:15], 0 offen       // 00000000A110: E05C1000 80831029
	v_mfma_i32_16x16x32_i8 v[216:219], a[130:131], v[134:135], v[216:219]// 00000000A118: D3D700D8 0F630D82
	v_mfma_i32_16x16x32_i8 v[220:223], a[128:129], v[160:161], v[220:223]// 00000000A120: D3D700DC 0F734180
	v_mfma_i32_16x16x32_i8 v[220:223], a[130:131], v[162:163], v[220:223]// 00000000A128: D3D700DC 0F734582
	v_mfma_i32_16x16x32_i8 v[224:227], a[132:133], v[132:133], v[224:227]// 00000000A130: D3D700E0 0F830984
	buffer_load_dwordx4 a[20:23], v42, s[12:15], 0 offen       // 00000000A138: E05C1000 8083142A
	v_mfma_i32_16x16x32_i8 v[224:227], a[134:135], v[134:135], v[224:227]// 00000000A140: D3D700E0 0F830D86
	v_mfma_i32_16x16x32_i8 v[228:231], a[132:133], v[160:161], v[228:231]// 00000000A148: D3D700E4 0F934184
	v_mfma_i32_16x16x32_i8 v[228:231], a[134:135], v[162:163], v[228:231]// 00000000A150: D3D700E4 0F934586
	v_mfma_i32_16x16x32_i8 v[232:235], a[136:137], v[132:133], v[232:235]// 00000000A158: D3D700E8 0FA30988
	buffer_load_dwordx4 a[24:27], v43, s[12:15], 0 offen       // 00000000A160: E05C1000 8083182B
	v_mfma_i32_16x16x32_i8 v[232:235], a[138:139], v[134:135], v[232:235]// 00000000A168: D3D700E8 0FA30D8A
	v_mfma_i32_16x16x32_i8 v[236:239], a[136:137], v[160:161], v[236:239]// 00000000A170: D3D700EC 0FB34188
	v_mfma_i32_16x16x32_i8 v[236:239], a[138:139], v[162:163], v[236:239]// 00000000A178: D3D700EC 0FB3458A
	v_mfma_i32_16x16x32_i8 v[240:243], a[140:141], v[132:133], v[240:243]// 00000000A180: D3D700F0 0FC3098C
	buffer_load_dwordx4 a[28:31], v44, s[12:15], 0 offen       // 00000000A188: E05C1000 80831C2C
	s_add_u32 s12, s78, s12                                    // 00000000A190: 800C0C4E
	s_addc_u32 s13, 0, s13                                     // 00000000A194: 820D0D80
	v_mfma_i32_16x16x32_i8 v[240:243], a[142:143], v[134:135], v[240:243]// 00000000A198: D3D700F0 0FC30D8E
	v_mfma_i32_16x16x32_i8 v[244:247], a[140:141], v[160:161], v[244:247]// 00000000A1A0: D3D700F4 0FD3418C
	v_mfma_i32_16x16x32_i8 v[244:247], a[142:143], v[162:163], v[244:247]// 00000000A1A8: D3D700F4 0FD3458E
	s_waitcnt vmcnt(41)                                        // 00000000A1B0: BF8C8F79
	v_mfma_i32_16x16x32_i8 v[216:219], a[144:145], v[136:137], v[216:219]// 00000000A1B4: D3D700D8 0F631190
	buffer_load_dwordx4 a[32:35], v41, s[12:15], 0 offen       // 00000000A1BC: E05C1000 80832029
	v_mfma_i32_16x16x32_i8 v[216:219], a[146:147], v[138:139], v[216:219]// 00000000A1C4: D3D700D8 0F631592
	v_mfma_i32_16x16x32_i8 v[220:223], a[144:145], v[164:165], v[220:223]// 00000000A1CC: D3D700DC 0F734990
	v_mfma_i32_16x16x32_i8 v[220:223], a[146:147], v[166:167], v[220:223]// 00000000A1D4: D3D700DC 0F734D92
	v_mfma_i32_16x16x32_i8 v[224:227], a[148:149], v[136:137], v[224:227]// 00000000A1DC: D3D700E0 0F831194
	buffer_load_dwordx4 a[36:39], v42, s[12:15], 0 offen       // 00000000A1E4: E05C1000 8083242A
	v_mfma_i32_16x16x32_i8 v[224:227], a[150:151], v[138:139], v[224:227]// 00000000A1EC: D3D700E0 0F831596
	v_mfma_i32_16x16x32_i8 v[228:231], a[148:149], v[164:165], v[228:231]// 00000000A1F4: D3D700E4 0F934994
	v_mfma_i32_16x16x32_i8 v[228:231], a[150:151], v[166:167], v[228:231]// 00000000A1FC: D3D700E4 0F934D96
	v_mfma_i32_16x16x32_i8 v[232:235], a[152:153], v[136:137], v[232:235]// 00000000A204: D3D700E8 0FA31198
	buffer_load_dwordx4 a[40:43], v43, s[12:15], 0 offen       // 00000000A20C: E05C1000 8083282B
	v_mfma_i32_16x16x32_i8 v[232:235], a[154:155], v[138:139], v[232:235]// 00000000A214: D3D700E8 0FA3159A
	v_mfma_i32_16x16x32_i8 v[236:239], a[152:153], v[164:165], v[236:239]// 00000000A21C: D3D700EC 0FB34998
	v_mfma_i32_16x16x32_i8 v[236:239], a[154:155], v[166:167], v[236:239]// 00000000A224: D3D700EC 0FB34D9A
	v_mfma_i32_16x16x32_i8 v[240:243], a[156:157], v[136:137], v[240:243]// 00000000A22C: D3D700F0 0FC3119C
	buffer_load_dwordx4 a[44:47], v44, s[12:15], 0 offen       // 00000000A234: E05C1000 80832C2C
	s_add_u32 s12, s78, s12                                    // 00000000A23C: 800C0C4E
	s_addc_u32 s13, 0, s13                                     // 00000000A240: 820D0D80
	v_mfma_i32_16x16x32_i8 v[240:243], a[158:159], v[138:139], v[240:243]// 00000000A244: D3D700F0 0FC3159E
	v_mfma_i32_16x16x32_i8 v[244:247], a[156:157], v[164:165], v[244:247]// 00000000A24C: D3D700F4 0FD3499C
	v_mfma_i32_16x16x32_i8 v[244:247], a[158:159], v[166:167], v[244:247]// 00000000A254: D3D700F4 0FD34D9E
	s_waitcnt vmcnt(41)                                        // 00000000A25C: BF8C8F79
	v_mfma_i32_16x16x32_i8 v[216:219], a[160:161], v[140:141], v[216:219]// 00000000A260: D3D700D8 0F6319A0
	buffer_load_dwordx4 a[48:51], v41, s[12:15], 0 offen       // 00000000A268: E05C1000 80833029
	v_mfma_i32_16x16x32_i8 v[216:219], a[162:163], v[142:143], v[216:219]// 00000000A270: D3D700D8 0F631DA2
	v_mfma_i32_16x16x32_i8 v[220:223], a[160:161], v[168:169], v[220:223]// 00000000A278: D3D700DC 0F7351A0
	v_mfma_i32_16x16x32_i8 v[220:223], a[162:163], v[170:171], v[220:223]// 00000000A280: D3D700DC 0F7355A2
	v_mfma_i32_16x16x32_i8 v[224:227], a[164:165], v[140:141], v[224:227]// 00000000A288: D3D700E0 0F8319A4
	buffer_load_dwordx4 a[52:55], v42, s[12:15], 0 offen       // 00000000A290: E05C1000 8083342A
	v_mfma_i32_16x16x32_i8 v[224:227], a[166:167], v[142:143], v[224:227]// 00000000A298: D3D700E0 0F831DA6
	v_mfma_i32_16x16x32_i8 v[228:231], a[164:165], v[168:169], v[228:231]// 00000000A2A0: D3D700E4 0F9351A4
	v_mfma_i32_16x16x32_i8 v[228:231], a[166:167], v[170:171], v[228:231]// 00000000A2A8: D3D700E4 0F9355A6
	v_mfma_i32_16x16x32_i8 v[232:235], a[168:169], v[140:141], v[232:235]// 00000000A2B0: D3D700E8 0FA319A8
	buffer_load_dwordx4 a[56:59], v43, s[12:15], 0 offen       // 00000000A2B8: E05C1000 8083382B
	v_mfma_i32_16x16x32_i8 v[232:235], a[170:171], v[142:143], v[232:235]// 00000000A2C0: D3D700E8 0FA31DAA
	v_mfma_i32_16x16x32_i8 v[236:239], a[168:169], v[168:169], v[236:239]// 00000000A2C8: D3D700EC 0FB351A8
	v_mfma_i32_16x16x32_i8 v[236:239], a[170:171], v[170:171], v[236:239]// 00000000A2D0: D3D700EC 0FB355AA
	v_mfma_i32_16x16x32_i8 v[240:243], a[172:173], v[140:141], v[240:243]// 00000000A2D8: D3D700F0 0FC319AC
	buffer_load_dwordx4 a[60:63], v44, s[12:15], 0 offen       // 00000000A2E0: E05C1000 80833C2C
	s_add_u32 s12, s78, s12                                    // 00000000A2E8: 800C0C4E
	s_addc_u32 s13, 0, s13                                     // 00000000A2EC: 820D0D80
	v_mfma_i32_16x16x32_i8 v[240:243], a[174:175], v[142:143], v[240:243]// 00000000A2F0: D3D700F0 0FC31DAE
	v_mfma_i32_16x16x32_i8 v[244:247], a[172:173], v[168:169], v[244:247]// 00000000A2F8: D3D700F4 0FD351AC
	v_mfma_i32_16x16x32_i8 v[244:247], a[174:175], v[170:171], v[244:247]// 00000000A300: D3D700F4 0FD355AE
	s_waitcnt vmcnt(41)                                        // 00000000A308: BF8C8F79
	v_mfma_i32_16x16x32_i8 v[216:219], a[176:177], v[144:145], v[216:219]// 00000000A30C: D3D700D8 0F6321B0
	buffer_load_dwordx4 a[64:67], v41, s[12:15], 0 offen       // 00000000A314: E05C1000 80834029
	v_mfma_i32_16x16x32_i8 v[216:219], a[178:179], v[146:147], v[216:219]// 00000000A31C: D3D700D8 0F6325B2
	v_mfma_i32_16x16x32_i8 v[220:223], a[176:177], v[172:173], v[220:223]// 00000000A324: D3D700DC 0F7359B0
	v_mfma_i32_16x16x32_i8 v[220:223], a[178:179], v[174:175], v[220:223]// 00000000A32C: D3D700DC 0F735DB2
	v_mfma_i32_16x16x32_i8 v[224:227], a[180:181], v[144:145], v[224:227]// 00000000A334: D3D700E0 0F8321B4
	buffer_load_dwordx4 a[68:71], v42, s[12:15], 0 offen       // 00000000A33C: E05C1000 8083442A
	v_mfma_i32_16x16x32_i8 v[224:227], a[182:183], v[146:147], v[224:227]// 00000000A344: D3D700E0 0F8325B6
	v_mfma_i32_16x16x32_i8 v[228:231], a[180:181], v[172:173], v[228:231]// 00000000A34C: D3D700E4 0F9359B4
	v_mfma_i32_16x16x32_i8 v[228:231], a[182:183], v[174:175], v[228:231]// 00000000A354: D3D700E4 0F935DB6
	v_mfma_i32_16x16x32_i8 v[232:235], a[184:185], v[144:145], v[232:235]// 00000000A35C: D3D700E8 0FA321B8
	buffer_load_dwordx4 a[72:75], v43, s[12:15], 0 offen       // 00000000A364: E05C1000 8083482B
	v_mfma_i32_16x16x32_i8 v[232:235], a[186:187], v[146:147], v[232:235]// 00000000A36C: D3D700E8 0FA325BA
	v_mfma_i32_16x16x32_i8 v[236:239], a[184:185], v[172:173], v[236:239]// 00000000A374: D3D700EC 0FB359B8
	v_mfma_i32_16x16x32_i8 v[236:239], a[186:187], v[174:175], v[236:239]// 00000000A37C: D3D700EC 0FB35DBA
	v_mfma_i32_16x16x32_i8 v[240:243], a[188:189], v[144:145], v[240:243]// 00000000A384: D3D700F0 0FC321BC
	buffer_load_dwordx4 a[76:79], v44, s[12:15], 0 offen       // 00000000A38C: E05C1000 80834C2C
	s_add_u32 s12, s78, s12                                    // 00000000A394: 800C0C4E
	s_addc_u32 s13, 0, s13                                     // 00000000A398: 820D0D80
	v_mfma_i32_16x16x32_i8 v[240:243], a[190:191], v[146:147], v[240:243]// 00000000A39C: D3D700F0 0FC325BE
	v_mfma_i32_16x16x32_i8 v[244:247], a[188:189], v[172:173], v[244:247]// 00000000A3A4: D3D700F4 0FD359BC
	v_mfma_i32_16x16x32_i8 v[244:247], a[190:191], v[174:175], v[244:247]// 00000000A3AC: D3D700F4 0FD35DBE
	s_waitcnt vmcnt(41)                                        // 00000000A3B4: BF8C8F79
	v_mfma_i32_16x16x32_i8 v[216:219], a[192:193], v[148:149], v[216:219]// 00000000A3B8: D3D700D8 0F6329C0
	buffer_load_dwordx4 a[80:83], v41, s[12:15], 0 offen       // 00000000A3C0: E05C1000 80835029
	v_mfma_i32_16x16x32_i8 v[216:219], a[194:195], v[150:151], v[216:219]// 00000000A3C8: D3D700D8 0F632DC2
	v_mfma_i32_16x16x32_i8 v[220:223], a[192:193], v[176:177], v[220:223]// 00000000A3D0: D3D700DC 0F7361C0
	v_mfma_i32_16x16x32_i8 v[220:223], a[194:195], v[178:179], v[220:223]// 00000000A3D8: D3D700DC 0F7365C2
	v_mfma_i32_16x16x32_i8 v[224:227], a[196:197], v[148:149], v[224:227]// 00000000A3E0: D3D700E0 0F8329C4
	buffer_load_dwordx4 a[84:87], v42, s[12:15], 0 offen       // 00000000A3E8: E05C1000 8083542A
	v_mfma_i32_16x16x32_i8 v[224:227], a[198:199], v[150:151], v[224:227]// 00000000A3F0: D3D700E0 0F832DC6
	v_mfma_i32_16x16x32_i8 v[228:231], a[196:197], v[176:177], v[228:231]// 00000000A3F8: D3D700E4 0F9361C4
	v_mfma_i32_16x16x32_i8 v[228:231], a[198:199], v[178:179], v[228:231]// 00000000A400: D3D700E4 0F9365C6
	v_mfma_i32_16x16x32_i8 v[232:235], a[200:201], v[148:149], v[232:235]// 00000000A408: D3D700E8 0FA329C8
	buffer_load_dwordx4 a[88:91], v43, s[12:15], 0 offen       // 00000000A410: E05C1000 8083582B
	v_mfma_i32_16x16x32_i8 v[232:235], a[202:203], v[150:151], v[232:235]// 00000000A418: D3D700E8 0FA32DCA
	v_mfma_i32_16x16x32_i8 v[236:239], a[200:201], v[176:177], v[236:239]// 00000000A420: D3D700EC 0FB361C8
	v_mfma_i32_16x16x32_i8 v[236:239], a[202:203], v[178:179], v[236:239]// 00000000A428: D3D700EC 0FB365CA
	v_mfma_i32_16x16x32_i8 v[240:243], a[204:205], v[148:149], v[240:243]// 00000000A430: D3D700F0 0FC329CC
	buffer_load_dwordx4 a[92:95], v44, s[12:15], 0 offen       // 00000000A438: E05C1000 80835C2C
	s_add_u32 s12, s78, s12                                    // 00000000A440: 800C0C4E
	s_addc_u32 s13, 0, s13                                     // 00000000A444: 820D0D80
	v_mfma_i32_16x16x32_i8 v[240:243], a[206:207], v[150:151], v[240:243]// 00000000A448: D3D700F0 0FC32DCE
	v_mfma_i32_16x16x32_i8 v[244:247], a[204:205], v[176:177], v[244:247]// 00000000A450: D3D700F4 0FD361CC
	v_mfma_i32_16x16x32_i8 v[244:247], a[206:207], v[178:179], v[244:247]// 00000000A458: D3D700F4 0FD365CE
	s_waitcnt vmcnt(40)                                        // 00000000A460: BF8C8F78
	v_mfma_i32_16x16x32_i8 v[216:219], a[208:209], v[152:153], v[216:219]// 00000000A464: D3D700D8 0F6331D0
	buffer_load_dwordx4 a[96:99], v41, s[12:15], 0 offen       // 00000000A46C: E05C1000 80836029
	v_mfma_i32_16x16x32_i8 v[216:219], a[210:211], v[154:155], v[216:219]// 00000000A474: D3D700D8 0F6335D2
	v_mfma_i32_16x16x32_i8 v[220:223], a[208:209], v[180:181], v[220:223]// 00000000A47C: D3D700DC 0F7369D0
	buffer_load_dword v12, v5, s[16:19], 0 offen               // 00000000A484: E0501000 80040C05
	v_mfma_i32_16x16x32_i8 v[220:223], a[210:211], v[182:183], v[220:223]// 00000000A48C: D3D700DC 0F736DD2
	v_mfma_i32_16x16x32_i8 v[224:227], a[212:213], v[152:153], v[224:227]// 00000000A494: D3D700E0 0F8331D4
	buffer_load_dwordx4 a[100:103], v42, s[12:15], 0 offen     // 00000000A49C: E05C1000 8083642A
	v_mfma_i32_16x16x32_i8 v[224:227], a[214:215], v[154:155], v[224:227]// 00000000A4A4: D3D700E0 0F8335D6
	v_mfma_i32_16x16x32_i8 v[228:231], a[212:213], v[180:181], v[228:231]// 00000000A4AC: D3D700E4 0F9369D4
	v_mfma_i32_16x16x32_i8 v[228:231], a[214:215], v[182:183], v[228:231]// 00000000A4B4: D3D700E4 0F936DD6
	v_mfma_i32_16x16x32_i8 v[232:235], a[216:217], v[152:153], v[232:235]// 00000000A4BC: D3D700E8 0FA331D8
	buffer_load_dwordx4 a[104:107], v43, s[12:15], 0 offen     // 00000000A4C4: E05C1000 8083682B
	v_mfma_i32_16x16x32_i8 v[232:235], a[218:219], v[154:155], v[232:235]// 00000000A4CC: D3D700E8 0FA335DA
	v_mfma_i32_16x16x32_i8 v[236:239], a[216:217], v[180:181], v[236:239]// 00000000A4D4: D3D700EC 0FB369D8
	v_mfma_i32_16x16x32_i8 v[236:239], a[218:219], v[182:183], v[236:239]// 00000000A4DC: D3D700EC 0FB36DDA
	v_mfma_i32_16x16x32_i8 v[240:243], a[220:221], v[152:153], v[240:243]// 00000000A4E4: D3D700F0 0FC331DC
	buffer_load_dwordx4 a[108:111], v44, s[12:15], 0 offen     // 00000000A4EC: E05C1000 80836C2C
	v_mfma_i32_16x16x32_i8 v[240:243], a[222:223], v[154:155], v[240:243]// 00000000A4F4: D3D700F0 0FC335DE
	v_mfma_i32_16x16x32_i8 v[244:247], a[220:221], v[180:181], v[244:247]// 00000000A4FC: D3D700F4 0FD369DC
	v_mfma_i32_16x16x32_i8 v[244:247], a[222:223], v[182:183], v[244:247]// 00000000A504: D3D700F4 0FD36DDE
	s_add_u32 s60, 0x200, s80                                  // 00000000A50C: 803C50FF 00000200
	s_cmp_lt_u32 s60, s81                                      // 00000000A514: BF0A513C
	s_cselect_b32 s56, s56, 0                                  // 00000000A518: 85388038
	s_cselect_b32 s78, s78, 0                                  // 00000000A51C: 854E804E
	s_cselect_b32 s79, s79, 0                                  // 00000000A520: 854F804F
	s_add_u32 s12, s56, s12                                    // 00000000A524: 800C0C38
	s_addc_u32 s13, 0, s13                                     // 00000000A528: 820D0D80
	s_add_u32 s16, s79, s16                                    // 00000000A52C: 8010104F
	s_addc_u32 s17, 0, s17                                     // 00000000A530: 82111180
	v_cvt_f32_i32_e32 v216, v216                               // 00000000A534: 7FB00BD8
	v_cvt_f32_i32_e32 v217, v217                               // 00000000A538: 7FB20BD9
	v_cvt_f32_i32_e32 v218, v218                               // 00000000A53C: 7FB40BDA
	v_cvt_f32_i32_e32 v219, v219                               // 00000000A540: 7FB60BDB
	v_mul_f32_e32 v216, v24, v216                              // 00000000A544: 0BB1B118
	v_mul_f32_e32 v217, v24, v217                              // 00000000A548: 0BB3B318
	v_mul_f32_e32 v218, v24, v218                              // 00000000A54C: 0BB5B518
	v_mul_f32_e32 v219, v24, v219                              // 00000000A550: 0BB7B718
	v_mul_f32_dpp v216, v13, v216 row_newbcast:0 row_mask:0xf bank_mask:0xf// 00000000A554: 0BB1B0FA FF01500D
	v_mul_f32_dpp v217, v13, v217 row_newbcast:1 row_mask:0xf bank_mask:0xf// 00000000A55C: 0BB3B2FA FF01510D
	v_mul_f32_dpp v218, v13, v218 row_newbcast:2 row_mask:0xf bank_mask:0xf// 00000000A564: 0BB5B4FA FF01520D
	v_mul_f32_dpp v219, v13, v219 row_newbcast:3 row_mask:0xf bank_mask:0xf// 00000000A56C: 0BB7B6FA FF01530D
	v_mul_f32_e32 v216, v20, v216                              // 00000000A574: 0BB1B114
	v_mul_f32_e32 v217, v20, v217                              // 00000000A578: 0BB3B314
	v_mul_f32_e32 v218, v20, v218                              // 00000000A57C: 0BB5B514
	v_mul_f32_e32 v219, v20, v219                              // 00000000A580: 0BB7B714
	v_cvt_f32_i32_e32 v220, v220                               // 00000000A584: 7FB80BDC
	v_cvt_f32_i32_e32 v221, v221                               // 00000000A588: 7FBA0BDD
	v_cvt_f32_i32_e32 v222, v222                               // 00000000A58C: 7FBC0BDE
	v_cvt_f32_i32_e32 v223, v223                               // 00000000A590: 7FBE0BDF
	v_mul_f32_e32 v220, v25, v220                              // 00000000A594: 0BB9B919
	v_mul_f32_e32 v221, v25, v221                              // 00000000A598: 0BBBBB19
	v_mul_f32_e32 v222, v25, v222                              // 00000000A59C: 0BBDBD19
	v_mul_f32_e32 v223, v25, v223                              // 00000000A5A0: 0BBFBF19
	v_mul_f32_dpp v220, v13, v220 row_newbcast:0 row_mask:0xf bank_mask:0xf// 00000000A5A4: 0BB9B8FA FF01500D
	v_mul_f32_dpp v221, v13, v221 row_newbcast:1 row_mask:0xf bank_mask:0xf// 00000000A5AC: 0BBBBAFA FF01510D
	v_mul_f32_dpp v222, v13, v222 row_newbcast:2 row_mask:0xf bank_mask:0xf// 00000000A5B4: 0BBDBCFA FF01520D
	v_mul_f32_dpp v223, v13, v223 row_newbcast:3 row_mask:0xf bank_mask:0xf// 00000000A5BC: 0BBFBEFA FF01530D
	v_mul_f32_e32 v220, v21, v220                              // 00000000A5C4: 0BB9B915
	v_mul_f32_e32 v221, v21, v221                              // 00000000A5C8: 0BBBBB15
	v_mul_f32_e32 v222, v21, v222                              // 00000000A5CC: 0BBDBD15
	v_mul_f32_e32 v223, v21, v223                              // 00000000A5D0: 0BBFBF15
	v_cvt_f32_i32_e32 v224, v224                               // 00000000A5D4: 7FC00BE0
	v_cvt_f32_i32_e32 v225, v225                               // 00000000A5D8: 7FC20BE1
	v_cvt_f32_i32_e32 v226, v226                               // 00000000A5DC: 7FC40BE2
	v_cvt_f32_i32_e32 v227, v227                               // 00000000A5E0: 7FC60BE3
	v_mul_f32_e32 v224, v24, v224                              // 00000000A5E4: 0BC1C118
	v_mul_f32_e32 v225, v24, v225                              // 00000000A5E8: 0BC3C318
	v_mul_f32_e32 v226, v24, v226                              // 00000000A5EC: 0BC5C518
	v_mul_f32_e32 v227, v24, v227                              // 00000000A5F0: 0BC7C718
	v_mul_f32_dpp v224, v13, v224 row_newbcast:4 row_mask:0xf bank_mask:0xf// 00000000A5F4: 0BC1C0FA FF01540D
	v_mul_f32_dpp v225, v13, v225 row_newbcast:5 row_mask:0xf bank_mask:0xf// 00000000A5FC: 0BC3C2FA FF01550D
	v_mul_f32_dpp v226, v13, v226 row_newbcast:6 row_mask:0xf bank_mask:0xf// 00000000A604: 0BC5C4FA FF01560D
	v_mul_f32_dpp v227, v13, v227 row_newbcast:7 row_mask:0xf bank_mask:0xf// 00000000A60C: 0BC7C6FA FF01570D
	v_mul_f32_e32 v224, v20, v224                              // 00000000A614: 0BC1C114
	v_mul_f32_e32 v225, v20, v225                              // 00000000A618: 0BC3C314
	v_mul_f32_e32 v226, v20, v226                              // 00000000A61C: 0BC5C514
	v_mul_f32_e32 v227, v20, v227                              // 00000000A620: 0BC7C714
	v_cvt_f32_i32_e32 v228, v228                               // 00000000A624: 7FC80BE4
	v_cvt_f32_i32_e32 v229, v229                               // 00000000A628: 7FCA0BE5
	v_cvt_f32_i32_e32 v230, v230                               // 00000000A62C: 7FCC0BE6
	v_cvt_f32_i32_e32 v231, v231                               // 00000000A630: 7FCE0BE7
	v_mul_f32_e32 v228, v25, v228                              // 00000000A634: 0BC9C919
	v_mul_f32_e32 v229, v25, v229                              // 00000000A638: 0BCBCB19
	v_mul_f32_e32 v230, v25, v230                              // 00000000A63C: 0BCDCD19
	v_mul_f32_e32 v231, v25, v231                              // 00000000A640: 0BCFCF19
	v_mul_f32_dpp v228, v13, v228 row_newbcast:4 row_mask:0xf bank_mask:0xf// 00000000A644: 0BC9C8FA FF01540D
	v_mul_f32_dpp v229, v13, v229 row_newbcast:5 row_mask:0xf bank_mask:0xf// 00000000A64C: 0BCBCAFA FF01550D
	v_mul_f32_dpp v230, v13, v230 row_newbcast:6 row_mask:0xf bank_mask:0xf// 00000000A654: 0BCDCCFA FF01560D
	v_mul_f32_dpp v231, v13, v231 row_newbcast:7 row_mask:0xf bank_mask:0xf// 00000000A65C: 0BCFCEFA FF01570D
	v_mul_f32_e32 v228, v21, v228                              // 00000000A664: 0BC9C915
	v_mul_f32_e32 v229, v21, v229                              // 00000000A668: 0BCBCB15
	v_mul_f32_e32 v230, v21, v230                              // 00000000A66C: 0BCDCD15
	v_mul_f32_e32 v231, v21, v231                              // 00000000A670: 0BCFCF15
	v_cvt_f32_i32_e32 v232, v232                               // 00000000A674: 7FD00BE8
	v_cvt_f32_i32_e32 v233, v233                               // 00000000A678: 7FD20BE9
	v_cvt_f32_i32_e32 v234, v234                               // 00000000A67C: 7FD40BEA
	v_cvt_f32_i32_e32 v235, v235                               // 00000000A680: 7FD60BEB
	v_mul_f32_e32 v232, v24, v232                              // 00000000A684: 0BD1D118
	v_mul_f32_e32 v233, v24, v233                              // 00000000A688: 0BD3D318
	v_mul_f32_e32 v234, v24, v234                              // 00000000A68C: 0BD5D518
	v_mul_f32_e32 v235, v24, v235                              // 00000000A690: 0BD7D718
	v_mul_f32_dpp v232, v13, v232 row_newbcast:8 row_mask:0xf bank_mask:0xf// 00000000A694: 0BD1D0FA FF01580D
	v_mul_f32_dpp v233, v13, v233 row_newbcast:9 row_mask:0xf bank_mask:0xf// 00000000A69C: 0BD3D2FA FF01590D
	v_mul_f32_dpp v234, v13, v234 row_newbcast:10 row_mask:0xf bank_mask:0xf// 00000000A6A4: 0BD5D4FA FF015A0D
	v_mul_f32_dpp v235, v13, v235 row_newbcast:11 row_mask:0xf bank_mask:0xf// 00000000A6AC: 0BD7D6FA FF015B0D
	v_mul_f32_e32 v232, v20, v232                              // 00000000A6B4: 0BD1D114
	v_mul_f32_e32 v233, v20, v233                              // 00000000A6B8: 0BD3D314
	v_mul_f32_e32 v234, v20, v234                              // 00000000A6BC: 0BD5D514
	v_mul_f32_e32 v235, v20, v235                              // 00000000A6C0: 0BD7D714
	v_cvt_f32_i32_e32 v236, v236                               // 00000000A6C4: 7FD80BEC
	v_cvt_f32_i32_e32 v237, v237                               // 00000000A6C8: 7FDA0BED
	v_cvt_f32_i32_e32 v238, v238                               // 00000000A6CC: 7FDC0BEE
	v_cvt_f32_i32_e32 v239, v239                               // 00000000A6D0: 7FDE0BEF
	v_mul_f32_e32 v236, v25, v236                              // 00000000A6D4: 0BD9D919
	v_mul_f32_e32 v237, v25, v237                              // 00000000A6D8: 0BDBDB19
	v_mul_f32_e32 v238, v25, v238                              // 00000000A6DC: 0BDDDD19
	v_mul_f32_e32 v239, v25, v239                              // 00000000A6E0: 0BDFDF19
	v_mul_f32_dpp v236, v13, v236 row_newbcast:8 row_mask:0xf bank_mask:0xf// 00000000A6E4: 0BD9D8FA FF01580D
	v_mul_f32_dpp v237, v13, v237 row_newbcast:9 row_mask:0xf bank_mask:0xf// 00000000A6EC: 0BDBDAFA FF01590D
	v_mul_f32_dpp v238, v13, v238 row_newbcast:10 row_mask:0xf bank_mask:0xf// 00000000A6F4: 0BDDDCFA FF015A0D
	v_mul_f32_dpp v239, v13, v239 row_newbcast:11 row_mask:0xf bank_mask:0xf// 00000000A6FC: 0BDFDEFA FF015B0D
	v_mul_f32_e32 v236, v21, v236                              // 00000000A704: 0BD9D915
	v_mul_f32_e32 v237, v21, v237                              // 00000000A708: 0BDBDB15
	v_mul_f32_e32 v238, v21, v238                              // 00000000A70C: 0BDDDD15
	v_mul_f32_e32 v239, v21, v239                              // 00000000A710: 0BDFDF15
	v_cvt_f32_i32_e32 v240, v240                               // 00000000A714: 7FE00BF0
	v_cvt_f32_i32_e32 v241, v241                               // 00000000A718: 7FE20BF1
	v_cvt_f32_i32_e32 v242, v242                               // 00000000A71C: 7FE40BF2
	v_cvt_f32_i32_e32 v243, v243                               // 00000000A720: 7FE60BF3
	v_mul_f32_e32 v240, v24, v240                              // 00000000A724: 0BE1E118
	v_mul_f32_e32 v241, v24, v241                              // 00000000A728: 0BE3E318
	v_mul_f32_e32 v242, v24, v242                              // 00000000A72C: 0BE5E518
	v_mul_f32_e32 v243, v24, v243                              // 00000000A730: 0BE7E718
	v_mul_f32_dpp v240, v13, v240 row_newbcast:12 row_mask:0xf bank_mask:0xf// 00000000A734: 0BE1E0FA FF015C0D
	v_mul_f32_dpp v241, v13, v241 row_newbcast:13 row_mask:0xf bank_mask:0xf// 00000000A73C: 0BE3E2FA FF015D0D
	v_mul_f32_dpp v242, v13, v242 row_newbcast:14 row_mask:0xf bank_mask:0xf// 00000000A744: 0BE5E4FA FF015E0D
	v_mul_f32_dpp v243, v13, v243 row_newbcast:15 row_mask:0xf bank_mask:0xf// 00000000A74C: 0BE7E6FA FF015F0D
	v_mul_f32_e32 v240, v20, v240                              // 00000000A754: 0BE1E114
	v_mul_f32_e32 v241, v20, v241                              // 00000000A758: 0BE3E314
	v_mul_f32_e32 v242, v20, v242                              // 00000000A75C: 0BE5E514
	v_mul_f32_e32 v243, v20, v243                              // 00000000A760: 0BE7E714
	v_cvt_f32_i32_e32 v244, v244                               // 00000000A764: 7FE80BF4
	v_cvt_f32_i32_e32 v245, v245                               // 00000000A768: 7FEA0BF5
	v_cvt_f32_i32_e32 v246, v246                               // 00000000A76C: 7FEC0BF6
	v_cvt_f32_i32_e32 v247, v247                               // 00000000A770: 7FEE0BF7
	v_mul_f32_e32 v244, v25, v244                              // 00000000A774: 0BE9E919
	v_mul_f32_e32 v245, v25, v245                              // 00000000A778: 0BEBEB19
	v_mul_f32_e32 v246, v25, v246                              // 00000000A77C: 0BEDED19
	v_mul_f32_e32 v247, v25, v247                              // 00000000A780: 0BEFEF19
	v_mul_f32_dpp v244, v13, v244 row_newbcast:12 row_mask:0xf bank_mask:0xf// 00000000A784: 0BE9E8FA FF015C0D
	v_mul_f32_dpp v245, v13, v245 row_newbcast:13 row_mask:0xf bank_mask:0xf// 00000000A78C: 0BEBEAFA FF015D0D
	v_mul_f32_dpp v246, v13, v246 row_newbcast:14 row_mask:0xf bank_mask:0xf// 00000000A794: 0BEDECFA FF015E0D
	v_mul_f32_dpp v247, v13, v247 row_newbcast:15 row_mask:0xf bank_mask:0xf// 00000000A79C: 0BEFEEFA FF015F0D
	v_mul_f32_e32 v244, v21, v244                              // 00000000A7A4: 0BE9E915
	v_mul_f32_e32 v245, v21, v245                              // 00000000A7A8: 0BEBEB15
	v_mul_f32_e32 v246, v21, v246                              // 00000000A7AC: 0BEDED15
	v_mul_f32_e32 v247, v21, v247                              // 00000000A7B0: 0BEFEF15
	v_cmp_u_f32_e64 s[48:49], v216, v216                       // 00000000A7B4: D0480030 0003B1D8
	v_add3_u32 v45, v216, v48, 1                               // 00000000A7BC: D1FF002D 020661D8
	v_cndmask_b32_e64 v50, v45, v47, s[48:49]                  // 00000000A7C4: D1000032 00C25F2D
	v_cmp_u_f32_e64 s[48:49], v217, v217                       // 00000000A7CC: D0480030 0003B3D9
	v_add3_u32 v45, v217, v48, 1                               // 00000000A7D4: D1FF002D 020661D9
	v_cndmask_b32_e64 v51, v45, v47, s[48:49]                  // 00000000A7DC: D1000033 00C25F2D
	v_perm_b32 v216, v51, v50, s52                             // 00000000A7E4: D1ED00D8 00D26533
	v_cmp_u_f32_e64 s[48:49], v218, v218                       // 00000000A7EC: D0480030 0003B5DA
	v_add3_u32 v45, v218, v48, 1                               // 00000000A7F4: D1FF002D 020661DA
	v_cndmask_b32_e64 v50, v45, v47, s[48:49]                  // 00000000A7FC: D1000032 00C25F2D
	v_cmp_u_f32_e64 s[48:49], v219, v219                       // 00000000A804: D0480030 0003B7DB
	v_add3_u32 v45, v219, v48, 1                               // 00000000A80C: D1FF002D 020661DB
	v_cndmask_b32_e64 v51, v45, v47, s[48:49]                  // 00000000A814: D1000033 00C25F2D
	v_perm_b32 v217, v51, v50, s52                             // 00000000A81C: D1ED00D9 00D26533
	v_cmp_u_f32_e64 s[48:49], v220, v220                       // 00000000A824: D0480030 0003B9DC
	v_add3_u32 v45, v220, v48, 1                               // 00000000A82C: D1FF002D 020661DC
	v_cndmask_b32_e64 v50, v45, v47, s[48:49]                  // 00000000A834: D1000032 00C25F2D
	v_cmp_u_f32_e64 s[48:49], v221, v221                       // 00000000A83C: D0480030 0003BBDD
	v_add3_u32 v45, v221, v48, 1                               // 00000000A844: D1FF002D 020661DD
	v_cndmask_b32_e64 v51, v45, v47, s[48:49]                  // 00000000A84C: D1000033 00C25F2D
	v_perm_b32 v218, v51, v50, s52                             // 00000000A854: D1ED00DA 00D26533
	v_cmp_u_f32_e64 s[48:49], v222, v222                       // 00000000A85C: D0480030 0003BDDE
	v_add3_u32 v45, v222, v48, 1                               // 00000000A864: D1FF002D 020661DE
	v_cndmask_b32_e64 v50, v45, v47, s[48:49]                  // 00000000A86C: D1000032 00C25F2D
	v_cmp_u_f32_e64 s[48:49], v223, v223                       // 00000000A874: D0480030 0003BFDF
	v_add3_u32 v45, v223, v48, 1                               // 00000000A87C: D1FF002D 020661DF
	v_cndmask_b32_e64 v51, v45, v47, s[48:49]                  // 00000000A884: D1000033 00C25F2D
	v_perm_b32 v219, v51, v50, s52                             // 00000000A88C: D1ED00DB 00D26533
	v_cmp_u_f32_e64 s[48:49], v224, v224                       // 00000000A894: D0480030 0003C1E0
	v_add3_u32 v45, v224, v48, 1                               // 00000000A89C: D1FF002D 020661E0
	v_cndmask_b32_e64 v50, v45, v47, s[48:49]                  // 00000000A8A4: D1000032 00C25F2D
	v_cmp_u_f32_e64 s[48:49], v225, v225                       // 00000000A8AC: D0480030 0003C3E1
	v_add3_u32 v45, v225, v48, 1                               // 00000000A8B4: D1FF002D 020661E1
	v_cndmask_b32_e64 v51, v45, v47, s[48:49]                  // 00000000A8BC: D1000033 00C25F2D
	v_perm_b32 v220, v51, v50, s52                             // 00000000A8C4: D1ED00DC 00D26533
	v_cmp_u_f32_e64 s[48:49], v226, v226                       // 00000000A8CC: D0480030 0003C5E2
	v_add3_u32 v45, v226, v48, 1                               // 00000000A8D4: D1FF002D 020661E2
	v_cndmask_b32_e64 v50, v45, v47, s[48:49]                  // 00000000A8DC: D1000032 00C25F2D
	v_cmp_u_f32_e64 s[48:49], v227, v227                       // 00000000A8E4: D0480030 0003C7E3
	v_add3_u32 v45, v227, v48, 1                               // 00000000A8EC: D1FF002D 020661E3
	v_cndmask_b32_e64 v51, v45, v47, s[48:49]                  // 00000000A8F4: D1000033 00C25F2D
	v_perm_b32 v221, v51, v50, s52                             // 00000000A8FC: D1ED00DD 00D26533
	v_cmp_u_f32_e64 s[48:49], v228, v228                       // 00000000A904: D0480030 0003C9E4
	v_add3_u32 v45, v228, v48, 1                               // 00000000A90C: D1FF002D 020661E4
	v_cndmask_b32_e64 v50, v45, v47, s[48:49]                  // 00000000A914: D1000032 00C25F2D
	v_cmp_u_f32_e64 s[48:49], v229, v229                       // 00000000A91C: D0480030 0003CBE5
	v_add3_u32 v45, v229, v48, 1                               // 00000000A924: D1FF002D 020661E5
	v_cndmask_b32_e64 v51, v45, v47, s[48:49]                  // 00000000A92C: D1000033 00C25F2D
	v_perm_b32 v222, v51, v50, s52                             // 00000000A934: D1ED00DE 00D26533
	v_cmp_u_f32_e64 s[48:49], v230, v230                       // 00000000A93C: D0480030 0003CDE6
	v_add3_u32 v45, v230, v48, 1                               // 00000000A944: D1FF002D 020661E6
	v_cndmask_b32_e64 v50, v45, v47, s[48:49]                  // 00000000A94C: D1000032 00C25F2D
	v_cmp_u_f32_e64 s[48:49], v231, v231                       // 00000000A954: D0480030 0003CFE7
	v_add3_u32 v45, v231, v48, 1                               // 00000000A95C: D1FF002D 020661E7
	v_cndmask_b32_e64 v51, v45, v47, s[48:49]                  // 00000000A964: D1000033 00C25F2D
	v_perm_b32 v223, v51, v50, s52                             // 00000000A96C: D1ED00DF 00D26533
	v_cmp_u_f32_e64 s[48:49], v232, v232                       // 00000000A974: D0480030 0003D1E8
	v_add3_u32 v45, v232, v48, 1                               // 00000000A97C: D1FF002D 020661E8
	v_cndmask_b32_e64 v50, v45, v47, s[48:49]                  // 00000000A984: D1000032 00C25F2D
	v_cmp_u_f32_e64 s[48:49], v233, v233                       // 00000000A98C: D0480030 0003D3E9
	v_add3_u32 v45, v233, v48, 1                               // 00000000A994: D1FF002D 020661E9
	v_cndmask_b32_e64 v51, v45, v47, s[48:49]                  // 00000000A99C: D1000033 00C25F2D
	v_perm_b32 v224, v51, v50, s52                             // 00000000A9A4: D1ED00E0 00D26533
	v_cmp_u_f32_e64 s[48:49], v234, v234                       // 00000000A9AC: D0480030 0003D5EA
	v_add3_u32 v45, v234, v48, 1                               // 00000000A9B4: D1FF002D 020661EA
	v_cndmask_b32_e64 v50, v45, v47, s[48:49]                  // 00000000A9BC: D1000032 00C25F2D
	v_cmp_u_f32_e64 s[48:49], v235, v235                       // 00000000A9C4: D0480030 0003D7EB
	v_add3_u32 v45, v235, v48, 1                               // 00000000A9CC: D1FF002D 020661EB
	v_cndmask_b32_e64 v51, v45, v47, s[48:49]                  // 00000000A9D4: D1000033 00C25F2D
	v_perm_b32 v225, v51, v50, s52                             // 00000000A9DC: D1ED00E1 00D26533
	v_cmp_u_f32_e64 s[48:49], v236, v236                       // 00000000A9E4: D0480030 0003D9EC
	v_add3_u32 v45, v236, v48, 1                               // 00000000A9EC: D1FF002D 020661EC
	v_cndmask_b32_e64 v50, v45, v47, s[48:49]                  // 00000000A9F4: D1000032 00C25F2D
	v_cmp_u_f32_e64 s[48:49], v237, v237                       // 00000000A9FC: D0480030 0003DBED
	v_add3_u32 v45, v237, v48, 1                               // 00000000AA04: D1FF002D 020661ED
	v_cndmask_b32_e64 v51, v45, v47, s[48:49]                  // 00000000AA0C: D1000033 00C25F2D
	v_perm_b32 v226, v51, v50, s52                             // 00000000AA14: D1ED00E2 00D26533
	v_cmp_u_f32_e64 s[48:49], v238, v238                       // 00000000AA1C: D0480030 0003DDEE
	v_add3_u32 v45, v238, v48, 1                               // 00000000AA24: D1FF002D 020661EE
	v_cndmask_b32_e64 v50, v45, v47, s[48:49]                  // 00000000AA2C: D1000032 00C25F2D
	v_cmp_u_f32_e64 s[48:49], v239, v239                       // 00000000AA34: D0480030 0003DFEF
	v_add3_u32 v45, v239, v48, 1                               // 00000000AA3C: D1FF002D 020661EF
	v_cndmask_b32_e64 v51, v45, v47, s[48:49]                  // 00000000AA44: D1000033 00C25F2D
	v_perm_b32 v227, v51, v50, s52                             // 00000000AA4C: D1ED00E3 00D26533
	v_cmp_u_f32_e64 s[48:49], v240, v240                       // 00000000AA54: D0480030 0003E1F0
	v_add3_u32 v45, v240, v48, 1                               // 00000000AA5C: D1FF002D 020661F0
	v_cndmask_b32_e64 v50, v45, v47, s[48:49]                  // 00000000AA64: D1000032 00C25F2D
	v_cmp_u_f32_e64 s[48:49], v241, v241                       // 00000000AA6C: D0480030 0003E3F1
	v_add3_u32 v45, v241, v48, 1                               // 00000000AA74: D1FF002D 020661F1
	v_cndmask_b32_e64 v51, v45, v47, s[48:49]                  // 00000000AA7C: D1000033 00C25F2D
	v_perm_b32 v228, v51, v50, s52                             // 00000000AA84: D1ED00E4 00D26533
	v_cmp_u_f32_e64 s[48:49], v242, v242                       // 00000000AA8C: D0480030 0003E5F2
	v_add3_u32 v45, v242, v48, 1                               // 00000000AA94: D1FF002D 020661F2
	v_cndmask_b32_e64 v50, v45, v47, s[48:49]                  // 00000000AA9C: D1000032 00C25F2D
	v_cmp_u_f32_e64 s[48:49], v243, v243                       // 00000000AAA4: D0480030 0003E7F3
	v_add3_u32 v45, v243, v48, 1                               // 00000000AAAC: D1FF002D 020661F3
	v_cndmask_b32_e64 v51, v45, v47, s[48:49]                  // 00000000AAB4: D1000033 00C25F2D
	v_perm_b32 v229, v51, v50, s52                             // 00000000AABC: D1ED00E5 00D26533
	v_cmp_u_f32_e64 s[48:49], v244, v244                       // 00000000AAC4: D0480030 0003E9F4
	v_add3_u32 v45, v244, v48, 1                               // 00000000AACC: D1FF002D 020661F4
	v_cndmask_b32_e64 v50, v45, v47, s[48:49]                  // 00000000AAD4: D1000032 00C25F2D
	v_cmp_u_f32_e64 s[48:49], v245, v245                       // 00000000AADC: D0480030 0003EBF5
	v_add3_u32 v45, v245, v48, 1                               // 00000000AAE4: D1FF002D 020661F5
	v_cndmask_b32_e64 v51, v45, v47, s[48:49]                  // 00000000AAEC: D1000033 00C25F2D
	v_perm_b32 v230, v51, v50, s52                             // 00000000AAF4: D1ED00E6 00D26533
	v_cmp_u_f32_e64 s[48:49], v246, v246                       // 00000000AAFC: D0480030 0003EDF6
	v_add3_u32 v45, v246, v48, 1                               // 00000000AB04: D1FF002D 020661F6
	v_cndmask_b32_e64 v50, v45, v47, s[48:49]                  // 00000000AB0C: D1000032 00C25F2D
	v_cmp_u_f32_e64 s[48:49], v247, v247                       // 00000000AB14: D0480030 0003EFF7
	v_add3_u32 v45, v247, v48, 1                               // 00000000AB1C: D1FF002D 020661F7
	v_cndmask_b32_e64 v51, v45, v47, s[48:49]                  // 00000000AB24: D1000033 00C25F2D
	v_perm_b32 v231, v51, v50, s52                             // 00000000AB2C: D1ED00E7 00D26533
	ds_write_b64 v3, v[216:217] offset:33024                   // 00000000AB34: D89A8100 0000D803
	ds_write_b64 v3, v[218:219] offset:41728                   // 00000000AB3C: D89AA300 0000DA03
	ds_write_b64 v3, v[220:221] offset:35200                   // 00000000AB44: D89A8980 0000DC03
	ds_write_b64 v3, v[222:223] offset:43904                   // 00000000AB4C: D89AAB80 0000DE03
	ds_write_b64 v3, v[224:225] offset:37376                   // 00000000AB54: D89A9200 0000E003
	ds_write_b64 v3, v[226:227] offset:46080                   // 00000000AB5C: D89AB400 0000E203
	ds_write_b64 v3, v[228:229] offset:39552                   // 00000000AB64: D89A9A80 0000E403
	ds_write_b64 v3, v[230:231] offset:48256                   // 00000000AB6C: D89ABC80 0000E603
	s_waitcnt lgkmcnt(0)                                       // 00000000AB74: BF8CC07F
	s_barrier                                                  // 00000000AB78: BF8A0000
	ds_read_b32 v64, v4 offset:33024                           // 00000000AB7C: D86C8100 40000004
	ds_read_b32 v65, v4 offset:37376                           // 00000000AB84: D86C9200 41000004
	ds_read_b32 v66, v4 offset:33056                           // 00000000AB8C: D86C8120 42000004
	ds_read_b32 v67, v4 offset:37408                           // 00000000AB94: D86C9220 43000004
	ds_read_b32 v68, v4 offset:33088                           // 00000000AB9C: D86C8140 44000004
	ds_read_b32 v69, v4 offset:37440                           // 00000000ABA4: D86C9240 45000004
	ds_read_b32 v70, v4 offset:33120                           // 00000000ABAC: D86C8160 46000004
	ds_read_b32 v71, v4 offset:37472                           // 00000000ABB4: D86C9260 47000004
	ds_read_b32 v72, v4 offset:41728                           // 00000000ABBC: D86CA300 48000004
	ds_read_b32 v73, v4 offset:46080                           // 00000000ABC4: D86CB400 49000004
	ds_read_b32 v74, v4 offset:41760                           // 00000000ABCC: D86CA320 4A000004
	ds_read_b32 v75, v4 offset:46112                           // 00000000ABD4: D86CB420 4B000004
	ds_read_b32 v76, v4 offset:41792                           // 00000000ABDC: D86CA340 4C000004
	ds_read_b32 v77, v4 offset:46144                           // 00000000ABE4: D86CB440 4D000004
	ds_read_b32 v78, v4 offset:41824                           // 00000000ABEC: D86CA360 4E000004
	ds_read_b32 v79, v4 offset:46176                           // 00000000ABF4: D86CB460 4F000004
	s_waitcnt lgkmcnt(0)                                       // 00000000ABFC: BF8CC07F
	s_mov_b64 exec, s[20:21]                                   // 00000000AC00: BEFE0114
	global_atomic_pk_add_bf16 v80, v64, s[8:9]                 // 00000000AC04: DD488000 00084050
	s_mov_b64 exec, s[36:37]                                   // 00000000AC0C: BEFE0124
	s_mov_b64 exec, s[20:21]                                   // 00000000AC10: BEFE0114
	global_atomic_pk_add_bf16 v80, v65, s[8:9] offset:256      // 00000000AC14: DD488100 00084150
	s_mov_b64 exec, s[36:37]                                   // 00000000AC1C: BEFE0124
	s_mov_b64 exec, s[22:23]                                   // 00000000AC20: BEFE0116
	global_atomic_pk_add_bf16 v82, v66, s[8:9]                 // 00000000AC24: DD488000 00084252
	s_mov_b64 exec, s[36:37]                                   // 00000000AC2C: BEFE0124
	s_mov_b64 exec, s[22:23]                                   // 00000000AC30: BEFE0116
	global_atomic_pk_add_bf16 v82, v67, s[8:9] offset:256      // 00000000AC34: DD488100 00084352
	s_mov_b64 exec, s[36:37]                                   // 00000000AC3C: BEFE0124
	s_mov_b64 exec, s[24:25]                                   // 00000000AC40: BEFE0118
	global_atomic_pk_add_bf16 v84, v68, s[8:9]                 // 00000000AC44: DD488000 00084454
	s_mov_b64 exec, s[36:37]                                   // 00000000AC4C: BEFE0124
	s_mov_b64 exec, s[24:25]                                   // 00000000AC50: BEFE0118
	global_atomic_pk_add_bf16 v84, v69, s[8:9] offset:256      // 00000000AC54: DD488100 00084554
	s_mov_b64 exec, s[36:37]                                   // 00000000AC5C: BEFE0124
	s_mov_b64 exec, s[26:27]                                   // 00000000AC60: BEFE011A
	global_atomic_pk_add_bf16 v86, v70, s[8:9]                 // 00000000AC64: DD488000 00084656
	s_mov_b64 exec, s[36:37]                                   // 00000000AC6C: BEFE0124
	s_mov_b64 exec, s[26:27]                                   // 00000000AC70: BEFE011A
	global_atomic_pk_add_bf16 v86, v71, s[8:9] offset:256      // 00000000AC74: DD488100 00084756
	s_mov_b64 exec, s[36:37]                                   // 00000000AC7C: BEFE0124
	s_mov_b64 exec, s[28:29]                                   // 00000000AC80: BEFE011C
	global_atomic_pk_add_bf16 v88, v72, s[8:9]                 // 00000000AC84: DD488000 00084858
	s_mov_b64 exec, s[36:37]                                   // 00000000AC8C: BEFE0124
	s_mov_b64 exec, s[28:29]                                   // 00000000AC90: BEFE011C
	global_atomic_pk_add_bf16 v88, v73, s[8:9] offset:256      // 00000000AC94: DD488100 00084958
	s_mov_b64 exec, s[36:37]                                   // 00000000AC9C: BEFE0124
	s_mov_b64 exec, s[30:31]                                   // 00000000ACA0: BEFE011E
	global_atomic_pk_add_bf16 v90, v74, s[8:9]                 // 00000000ACA4: DD488000 00084A5A
	s_mov_b64 exec, s[36:37]                                   // 00000000ACAC: BEFE0124
	s_mov_b64 exec, s[30:31]                                   // 00000000ACB0: BEFE011E
	global_atomic_pk_add_bf16 v90, v75, s[8:9] offset:256      // 00000000ACB4: DD488100 00084B5A
	s_mov_b64 exec, s[36:37]                                   // 00000000ACBC: BEFE0124
	s_mov_b64 exec, s[32:33]                                   // 00000000ACC0: BEFE0120
	global_atomic_pk_add_bf16 v92, v76, s[8:9]                 // 00000000ACC4: DD488000 00084C5C
	s_mov_b64 exec, s[36:37]                                   // 00000000ACCC: BEFE0124
	s_mov_b64 exec, s[32:33]                                   // 00000000ACD0: BEFE0120
	global_atomic_pk_add_bf16 v92, v77, s[8:9] offset:256      // 00000000ACD4: DD488100 00084D5C
	s_mov_b64 exec, s[36:37]                                   // 00000000ACDC: BEFE0124
	s_mov_b64 exec, s[34:35]                                   // 00000000ACE0: BEFE0122
	global_atomic_pk_add_bf16 v94, v78, s[8:9]                 // 00000000ACE4: DD488000 00084E5E
	s_mov_b64 exec, s[36:37]                                   // 00000000ACEC: BEFE0124
	s_mov_b64 exec, s[34:35]                                   // 00000000ACF0: BEFE0122
	global_atomic_pk_add_bf16 v94, v79, s[8:9] offset:256      // 00000000ACF4: DD488100 00084F5E
	s_mov_b64 exec, s[36:37]                                   // 00000000ACFC: BEFE0124
	s_add_u32 s8, s59, s8                                      // 00000000AD00: 8008083B
	s_addc_u32 s9, 0, s9                                       // 00000000AD04: 82090980
	s_addk_i32 s80, 0x100                                      // 00000000AD08: B7500100
	s_cmp_lt_i32 s80, s81                                      // 00000000AD0C: BF045150
	s_cbranch_scc0 label_118D                                  // 00000000AD10: BF84F108
	s_branch label_1A25                                        // 00000000AD14: BF82F99F

000000000000ad18 <label_2086>:
	s_waitcnt vmcnt(0) expcnt(0) lgkmcnt(0)                    // 00000000AD18: BF8C0000
	s_endpgm                                                   // 00000000AD1C: BF810000
